;; amdgpu-corpus repo=ROCm/rocFFT kind=compiled arch=gfx1030 opt=O3
	.text
	.amdgcn_target "amdgcn-amd-amdhsa--gfx1030"
	.amdhsa_code_object_version 6
	.protected	fft_rtc_fwd_len2430_factors_10_3_3_3_3_3_wgs_81_tpt_81_halfLds_half_ip_CI_unitstride_sbrr_C2R_dirReg ; -- Begin function fft_rtc_fwd_len2430_factors_10_3_3_3_3_3_wgs_81_tpt_81_halfLds_half_ip_CI_unitstride_sbrr_C2R_dirReg
	.globl	fft_rtc_fwd_len2430_factors_10_3_3_3_3_3_wgs_81_tpt_81_halfLds_half_ip_CI_unitstride_sbrr_C2R_dirReg
	.p2align	8
	.type	fft_rtc_fwd_len2430_factors_10_3_3_3_3_3_wgs_81_tpt_81_halfLds_half_ip_CI_unitstride_sbrr_C2R_dirReg,@function
fft_rtc_fwd_len2430_factors_10_3_3_3_3_3_wgs_81_tpt_81_halfLds_half_ip_CI_unitstride_sbrr_C2R_dirReg: ; @fft_rtc_fwd_len2430_factors_10_3_3_3_3_3_wgs_81_tpt_81_halfLds_half_ip_CI_unitstride_sbrr_C2R_dirReg
; %bb.0:
	s_clause 0x2
	s_load_dwordx4 s[8:11], s[4:5], 0x0
	s_load_dwordx2 s[2:3], s[4:5], 0x50
	s_load_dwordx2 s[12:13], s[4:5], 0x18
	v_mul_u32_u24_e32 v1, 0x32a, v0
	v_mov_b32_e32 v3, 0
	v_add_nc_u32_sdwa v5, s6, v1 dst_sel:DWORD dst_unused:UNUSED_PAD src0_sel:DWORD src1_sel:WORD_1
	v_mov_b32_e32 v1, 0
	v_mov_b32_e32 v6, v3
	v_mov_b32_e32 v2, 0
	s_waitcnt lgkmcnt(0)
	v_cmp_lt_u64_e64 s0, s[10:11], 2
	s_and_b32 vcc_lo, exec_lo, s0
	s_cbranch_vccnz .LBB0_8
; %bb.1:
	s_load_dwordx2 s[0:1], s[4:5], 0x10
	v_mov_b32_e32 v1, 0
	s_add_u32 s6, s12, 8
	v_mov_b32_e32 v2, 0
	s_addc_u32 s7, s13, 0
	s_mov_b64 s[16:17], 1
	s_waitcnt lgkmcnt(0)
	s_add_u32 s14, s0, 8
	s_addc_u32 s15, s1, 0
.LBB0_2:                                ; =>This Inner Loop Header: Depth=1
	s_load_dwordx2 s[18:19], s[14:15], 0x0
                                        ; implicit-def: $vgpr7_vgpr8
	s_mov_b32 s0, exec_lo
	s_waitcnt lgkmcnt(0)
	v_or_b32_e32 v4, s19, v6
	v_cmpx_ne_u64_e32 0, v[3:4]
	s_xor_b32 s1, exec_lo, s0
	s_cbranch_execz .LBB0_4
; %bb.3:                                ;   in Loop: Header=BB0_2 Depth=1
	v_cvt_f32_u32_e32 v4, s18
	v_cvt_f32_u32_e32 v7, s19
	s_sub_u32 s0, 0, s18
	s_subb_u32 s20, 0, s19
	v_fmac_f32_e32 v4, 0x4f800000, v7
	v_rcp_f32_e32 v4, v4
	v_mul_f32_e32 v4, 0x5f7ffffc, v4
	v_mul_f32_e32 v7, 0x2f800000, v4
	v_trunc_f32_e32 v7, v7
	v_fmac_f32_e32 v4, 0xcf800000, v7
	v_cvt_u32_f32_e32 v7, v7
	v_cvt_u32_f32_e32 v4, v4
	v_mul_lo_u32 v8, s0, v7
	v_mul_hi_u32 v9, s0, v4
	v_mul_lo_u32 v10, s20, v4
	v_add_nc_u32_e32 v8, v9, v8
	v_mul_lo_u32 v9, s0, v4
	v_add_nc_u32_e32 v8, v8, v10
	v_mul_hi_u32 v10, v4, v9
	v_mul_lo_u32 v11, v4, v8
	v_mul_hi_u32 v12, v4, v8
	v_mul_hi_u32 v13, v7, v9
	v_mul_lo_u32 v9, v7, v9
	v_mul_hi_u32 v14, v7, v8
	v_mul_lo_u32 v8, v7, v8
	v_add_co_u32 v10, vcc_lo, v10, v11
	v_add_co_ci_u32_e32 v11, vcc_lo, 0, v12, vcc_lo
	v_add_co_u32 v9, vcc_lo, v10, v9
	v_add_co_ci_u32_e32 v9, vcc_lo, v11, v13, vcc_lo
	v_add_co_ci_u32_e32 v10, vcc_lo, 0, v14, vcc_lo
	v_add_co_u32 v8, vcc_lo, v9, v8
	v_add_co_ci_u32_e32 v9, vcc_lo, 0, v10, vcc_lo
	v_add_co_u32 v4, vcc_lo, v4, v8
	v_add_co_ci_u32_e32 v7, vcc_lo, v7, v9, vcc_lo
	v_mul_hi_u32 v8, s0, v4
	v_mul_lo_u32 v10, s20, v4
	v_mul_lo_u32 v9, s0, v7
	v_add_nc_u32_e32 v8, v8, v9
	v_mul_lo_u32 v9, s0, v4
	v_add_nc_u32_e32 v8, v8, v10
	v_mul_hi_u32 v10, v4, v9
	v_mul_lo_u32 v11, v4, v8
	v_mul_hi_u32 v12, v4, v8
	v_mul_hi_u32 v13, v7, v9
	v_mul_lo_u32 v9, v7, v9
	v_mul_hi_u32 v14, v7, v8
	v_mul_lo_u32 v8, v7, v8
	v_add_co_u32 v10, vcc_lo, v10, v11
	v_add_co_ci_u32_e32 v11, vcc_lo, 0, v12, vcc_lo
	v_add_co_u32 v9, vcc_lo, v10, v9
	v_add_co_ci_u32_e32 v9, vcc_lo, v11, v13, vcc_lo
	v_add_co_ci_u32_e32 v10, vcc_lo, 0, v14, vcc_lo
	v_add_co_u32 v8, vcc_lo, v9, v8
	v_add_co_ci_u32_e32 v9, vcc_lo, 0, v10, vcc_lo
	v_add_co_u32 v4, vcc_lo, v4, v8
	v_add_co_ci_u32_e32 v11, vcc_lo, v7, v9, vcc_lo
	v_mul_hi_u32 v13, v5, v4
	v_mad_u64_u32 v[9:10], null, v6, v4, 0
	v_mad_u64_u32 v[7:8], null, v5, v11, 0
	;; [unrolled: 1-line block ×3, first 2 shown]
	v_add_co_u32 v4, vcc_lo, v13, v7
	v_add_co_ci_u32_e32 v7, vcc_lo, 0, v8, vcc_lo
	v_add_co_u32 v4, vcc_lo, v4, v9
	v_add_co_ci_u32_e32 v4, vcc_lo, v7, v10, vcc_lo
	v_add_co_ci_u32_e32 v7, vcc_lo, 0, v12, vcc_lo
	v_add_co_u32 v4, vcc_lo, v4, v11
	v_add_co_ci_u32_e32 v9, vcc_lo, 0, v7, vcc_lo
	v_mul_lo_u32 v10, s19, v4
	v_mad_u64_u32 v[7:8], null, s18, v4, 0
	v_mul_lo_u32 v11, s18, v9
	v_sub_co_u32 v7, vcc_lo, v5, v7
	v_add3_u32 v8, v8, v11, v10
	v_sub_nc_u32_e32 v10, v6, v8
	v_subrev_co_ci_u32_e64 v10, s0, s19, v10, vcc_lo
	v_add_co_u32 v11, s0, v4, 2
	v_add_co_ci_u32_e64 v12, s0, 0, v9, s0
	v_sub_co_u32 v13, s0, v7, s18
	v_sub_co_ci_u32_e32 v8, vcc_lo, v6, v8, vcc_lo
	v_subrev_co_ci_u32_e64 v10, s0, 0, v10, s0
	v_cmp_le_u32_e32 vcc_lo, s18, v13
	v_cmp_eq_u32_e64 s0, s19, v8
	v_cndmask_b32_e64 v13, 0, -1, vcc_lo
	v_cmp_le_u32_e32 vcc_lo, s19, v10
	v_cndmask_b32_e64 v14, 0, -1, vcc_lo
	v_cmp_le_u32_e32 vcc_lo, s18, v7
	;; [unrolled: 2-line block ×3, first 2 shown]
	v_cndmask_b32_e64 v15, 0, -1, vcc_lo
	v_cmp_eq_u32_e32 vcc_lo, s19, v10
	v_cndmask_b32_e64 v7, v15, v7, s0
	v_cndmask_b32_e32 v10, v14, v13, vcc_lo
	v_add_co_u32 v13, vcc_lo, v4, 1
	v_add_co_ci_u32_e32 v14, vcc_lo, 0, v9, vcc_lo
	v_cmp_ne_u32_e32 vcc_lo, 0, v10
	v_cndmask_b32_e32 v8, v14, v12, vcc_lo
	v_cndmask_b32_e32 v10, v13, v11, vcc_lo
	v_cmp_ne_u32_e32 vcc_lo, 0, v7
	v_cndmask_b32_e32 v8, v9, v8, vcc_lo
	v_cndmask_b32_e32 v7, v4, v10, vcc_lo
.LBB0_4:                                ;   in Loop: Header=BB0_2 Depth=1
	s_andn2_saveexec_b32 s0, s1
	s_cbranch_execz .LBB0_6
; %bb.5:                                ;   in Loop: Header=BB0_2 Depth=1
	v_cvt_f32_u32_e32 v4, s18
	s_sub_i32 s1, 0, s18
	v_rcp_iflag_f32_e32 v4, v4
	v_mul_f32_e32 v4, 0x4f7ffffe, v4
	v_cvt_u32_f32_e32 v4, v4
	v_mul_lo_u32 v7, s1, v4
	v_mul_hi_u32 v7, v4, v7
	v_add_nc_u32_e32 v4, v4, v7
	v_mul_hi_u32 v4, v5, v4
	v_mul_lo_u32 v7, v4, s18
	v_add_nc_u32_e32 v8, 1, v4
	v_sub_nc_u32_e32 v7, v5, v7
	v_subrev_nc_u32_e32 v9, s18, v7
	v_cmp_le_u32_e32 vcc_lo, s18, v7
	v_cndmask_b32_e32 v7, v7, v9, vcc_lo
	v_cndmask_b32_e32 v4, v4, v8, vcc_lo
	v_cmp_le_u32_e32 vcc_lo, s18, v7
	v_add_nc_u32_e32 v8, 1, v4
	v_cndmask_b32_e32 v7, v4, v8, vcc_lo
	v_mov_b32_e32 v8, v3
.LBB0_6:                                ;   in Loop: Header=BB0_2 Depth=1
	s_or_b32 exec_lo, exec_lo, s0
	s_load_dwordx2 s[0:1], s[6:7], 0x0
	v_mul_lo_u32 v4, v8, s18
	v_mul_lo_u32 v11, v7, s19
	v_mad_u64_u32 v[9:10], null, v7, s18, 0
	s_add_u32 s16, s16, 1
	s_addc_u32 s17, s17, 0
	s_add_u32 s6, s6, 8
	s_addc_u32 s7, s7, 0
	;; [unrolled: 2-line block ×3, first 2 shown]
	v_add3_u32 v4, v10, v11, v4
	v_sub_co_u32 v5, vcc_lo, v5, v9
	v_sub_co_ci_u32_e32 v4, vcc_lo, v6, v4, vcc_lo
	s_waitcnt lgkmcnt(0)
	v_mul_lo_u32 v6, s1, v5
	v_mul_lo_u32 v4, s0, v4
	v_mad_u64_u32 v[1:2], null, s0, v5, v[1:2]
	v_cmp_ge_u64_e64 s0, s[16:17], s[10:11]
	s_and_b32 vcc_lo, exec_lo, s0
	v_add3_u32 v2, v6, v2, v4
	s_cbranch_vccnz .LBB0_9
; %bb.7:                                ;   in Loop: Header=BB0_2 Depth=1
	v_mov_b32_e32 v5, v7
	v_mov_b32_e32 v6, v8
	s_branch .LBB0_2
.LBB0_8:
	v_mov_b32_e32 v8, v6
	v_mov_b32_e32 v7, v5
.LBB0_9:
	s_lshl_b64 s[0:1], s[10:11], 3
	v_mul_hi_u32 v5, 0x3291620, v0
	s_add_u32 s0, s12, s0
	s_addc_u32 s1, s13, s1
	s_load_dwordx2 s[0:1], s[0:1], 0x0
	s_load_dwordx2 s[4:5], s[4:5], 0x20
	s_waitcnt lgkmcnt(0)
	v_mul_lo_u32 v3, s0, v8
	v_mul_lo_u32 v4, s1, v7
	v_mad_u64_u32 v[1:2], null, s0, v7, v[1:2]
	v_cmp_gt_u64_e32 vcc_lo, s[4:5], v[7:8]
	v_add3_u32 v2, v4, v2, v3
	v_mul_u32_u24_e32 v4, 0x51, v5
	v_lshlrev_b64 v[2:3], 2, v[1:2]
	v_sub_nc_u32_e32 v0, v0, v4
	s_and_saveexec_b32 s1, vcc_lo
	s_cbranch_execz .LBB0_13
; %bb.10:
	v_mov_b32_e32 v1, 0
	v_add_co_u32 v4, s0, s2, v2
	v_add_co_ci_u32_e64 v5, s0, s3, v3, s0
	v_lshlrev_b64 v[6:7], 2, v[0:1]
	v_add_co_u32 v6, s0, v4, v6
	v_add_co_ci_u32_e64 v7, s0, v5, v7, s0
	v_add_co_u32 v8, s0, 0x800, v6
	v_add_co_ci_u32_e64 v9, s0, 0, v7, s0
	;; [unrolled: 2-line block ×3, first 2 shown]
	s_clause 0xf
	global_load_dword v12, v[6:7], off
	global_load_dword v13, v[6:7], off offset:324
	global_load_dword v14, v[6:7], off offset:648
	;; [unrolled: 1-line block ×15, first 2 shown]
	v_add_co_u32 v8, s0, 0x1800, v6
	v_add_co_ci_u32_e64 v9, s0, 0, v7, s0
	v_add_co_u32 v6, s0, 0x2000, v6
	v_add_co_ci_u32_e64 v7, s0, 0, v7, s0
	s_clause 0xd
	global_load_dword v28, v[10:11], off offset:1088
	global_load_dword v29, v[10:11], off offset:1412
	;; [unrolled: 1-line block ×14, first 2 shown]
	v_lshl_add_u32 v7, v0, 2, 0
	v_cmp_eq_u32_e64 s0, 0x50, v0
	v_add_nc_u32_e32 v37, 0x400, v7
	v_add_nc_u32_e32 v38, 0x600, v7
	;; [unrolled: 1-line block ×13, first 2 shown]
	s_waitcnt vmcnt(28)
	ds_write2_b32 v7, v12, v13 offset1:81
	s_waitcnt vmcnt(26)
	ds_write2_b32 v7, v14, v15 offset0:162 offset1:243
	s_waitcnt vmcnt(24)
	ds_write2_b32 v37, v16, v17 offset0:68 offset1:149
	;; [unrolled: 2-line block ×14, first 2 shown]
	s_and_saveexec_b32 s4, s0
	s_cbranch_execz .LBB0_12
; %bb.11:
	v_add_co_u32 v4, s0, 0x2000, v4
	v_add_co_ci_u32_e64 v5, s0, 0, v5, s0
	v_mov_b32_e32 v0, 0x50
	global_load_dword v4, v[4:5], off offset:1528
	s_waitcnt vmcnt(0)
	ds_write_b32 v1, v4 offset:9720
.LBB0_12:
	s_or_b32 exec_lo, exec_lo, s4
.LBB0_13:
	s_or_b32 exec_lo, exec_lo, s1
	v_lshlrev_b32_e32 v1, 2, v0
	s_waitcnt lgkmcnt(0)
	s_barrier
	buffer_gl0_inv
	s_add_u32 s1, s8, 0x25d0
	v_add_nc_u32_e32 v28, 0, v1
	v_sub_nc_u32_e32 v6, 0, v1
	s_addc_u32 s4, s9, 0
	s_mov_b32 s5, exec_lo
                                        ; implicit-def: $vgpr4_vgpr5
	ds_read_u16 v9, v28
	ds_read_u16 v10, v6 offset:9720
	s_waitcnt lgkmcnt(0)
	v_add_f16_e32 v8, v10, v9
	v_sub_f16_e32 v7, v9, v10
	v_cmpx_ne_u32_e32 0, v0
	s_xor_b32 s5, exec_lo, s5
	s_cbranch_execz .LBB0_15
; %bb.14:
	v_mov_b32_e32 v1, 0
	v_add_f16_e32 v8, v10, v9
	v_sub_f16_e32 v9, v9, v10
	v_lshlrev_b64 v[4:5], 2, v[0:1]
	v_add_co_u32 v4, s0, s1, v4
	v_add_co_ci_u32_e64 v5, s0, s4, v5, s0
	global_load_dword v4, v[4:5], off
	ds_read_u16 v5, v6 offset:9722
	ds_read_u16 v7, v28 offset:2
	s_waitcnt lgkmcnt(0)
	v_add_f16_e32 v10, v5, v7
	v_sub_f16_e32 v5, v7, v5
	s_waitcnt vmcnt(0)
	v_lshrrev_b32_e32 v11, 16, v4
	v_fma_f16 v12, -v9, v11, v8
	v_fma_f16 v13, v10, v11, -v5
	v_fma_f16 v7, v10, v11, v5
	v_fma_f16 v8, v9, v11, v8
	v_fmac_f16_e32 v12, v4, v10
	v_fmac_f16_e32 v13, v9, v4
	;; [unrolled: 1-line block ×3, first 2 shown]
	v_fma_f16 v8, -v4, v10, v8
	v_mov_b32_e32 v5, v1
	v_mov_b32_e32 v4, v0
	v_pack_b32_f16 v9, v12, v13
	ds_write_b32 v6, v9 offset:9720
.LBB0_15:
	s_andn2_saveexec_b32 s0, s5
	s_cbranch_execz .LBB0_17
; %bb.16:
	v_mov_b32_e32 v1, 0
	ds_read_b32 v4, v1 offset:4860
	s_waitcnt lgkmcnt(0)
	v_pk_mul_f16 v9, 0xc0004000, v4
	v_mov_b32_e32 v4, 0
	v_mov_b32_e32 v5, 0
	ds_write_b32 v1, v9 offset:4860
.LBB0_17:
	s_or_b32 exec_lo, exec_lo, s0
	v_lshlrev_b64 v[4:5], 2, v[4:5]
	v_perm_b32 v7, v7, v8, 0x5040100
	v_and_b32_e32 v24, 0xff, v0
	v_add_nc_u32_e32 v30, 0xe00, v28
	v_add_nc_u32_e32 v29, 0x1600, v28
	v_add_nc_u32_e32 v31, 0x1c00, v28
	v_add_co_u32 v4, s0, s1, v4
	v_add_co_ci_u32_e64 v5, s0, s4, v5, s0
	v_add_nc_u32_e32 v33, 0x1000, v28
	v_add_co_u32 v9, s0, 0x800, v4
	s_clause 0x5
	global_load_dword v1, v[4:5], off offset:324
	global_load_dword v11, v[4:5], off offset:648
	;; [unrolled: 1-line block ×6, first 2 shown]
	v_add_co_ci_u32_e64 v10, s0, 0, v5, s0
	ds_write_b32 v28, v7
	v_add_co_u32 v4, s0, 0x1000, v4
	global_load_dword v16, v[9:10], off offset:220
	ds_read_b32 v7, v28 offset:324
	ds_read_b32 v8, v6 offset:9396
	global_load_dword v17, v[9:10], off offset:544
	v_add_co_ci_u32_e64 v5, s0, 0, v5, s0
	v_add_nc_u32_e32 v34, 0x1800, v28
	v_add_nc_u32_e32 v32, 0x800, v28
	;; [unrolled: 1-line block ×14, first 2 shown]
	v_and_b32_e32 v25, 0xff, v48
	v_and_b32_e32 v26, 0xff, v47
	s_waitcnt lgkmcnt(0)
	v_add_f16_e32 v18, v7, v8
	v_add_f16_sdwa v19, v8, v7 dst_sel:DWORD dst_unused:UNUSED_PAD src0_sel:WORD_1 src1_sel:WORD_1
	v_sub_f16_e32 v20, v7, v8
	v_sub_f16_sdwa v7, v7, v8 dst_sel:DWORD dst_unused:UNUSED_PAD src0_sel:WORD_1 src1_sel:WORD_1
	v_add_nc_u32_e32 v45, 0x1e6, v0
	v_mov_b32_e32 v46, 3
	v_cmp_gt_u32_e64 s0, 9, v0
	s_waitcnt vmcnt(7)
	v_lshrrev_b32_e32 v21, 16, v1
	v_fma_f16 v8, v20, v21, v18
	v_fma_f16 v22, v19, v21, v7
	v_fma_f16 v18, -v20, v21, v18
	v_fma_f16 v7, v19, v21, -v7
	v_fma_f16 v8, -v1, v19, v8
	v_fmac_f16_e32 v22, v20, v1
	v_fmac_f16_e32 v18, v1, v19
	;; [unrolled: 1-line block ×3, first 2 shown]
	v_pack_b32_f16 v1, v8, v22
	s_waitcnt vmcnt(6)
	v_lshrrev_b32_e32 v8, 16, v11
	v_pack_b32_f16 v7, v18, v7
	ds_write_b32 v28, v1 offset:324
	ds_write_b32 v6, v7 offset:9396
	ds_read_b32 v1, v28 offset:648
	ds_read_b32 v7, v6 offset:9072
	s_waitcnt lgkmcnt(0)
	v_add_f16_e32 v18, v1, v7
	v_add_f16_sdwa v19, v7, v1 dst_sel:DWORD dst_unused:UNUSED_PAD src0_sel:WORD_1 src1_sel:WORD_1
	v_sub_f16_e32 v20, v1, v7
	v_sub_f16_sdwa v1, v1, v7 dst_sel:DWORD dst_unused:UNUSED_PAD src0_sel:WORD_1 src1_sel:WORD_1
	global_load_dword v7, v[9:10], off offset:868
	v_fma_f16 v21, v20, v8, v18
	v_fma_f16 v22, v19, v8, v1
	v_fma_f16 v18, -v20, v8, v18
	v_fma_f16 v1, v19, v8, -v1
	v_fma_f16 v8, -v11, v19, v21
	v_fmac_f16_e32 v22, v20, v11
	v_fmac_f16_e32 v18, v11, v19
	v_fmac_f16_e32 v1, v20, v11
	s_waitcnt vmcnt(6)
	v_lshrrev_b32_e32 v11, 16, v12
	v_pack_b32_f16 v8, v8, v22
	v_pack_b32_f16 v1, v18, v1
	ds_write_b32 v28, v8 offset:648
	ds_write_b32 v6, v1 offset:9072
	ds_read_b32 v1, v28 offset:972
	ds_read_b32 v8, v6 offset:8748
	s_waitcnt lgkmcnt(0)
	v_add_f16_e32 v18, v1, v8
	v_add_f16_sdwa v19, v8, v1 dst_sel:DWORD dst_unused:UNUSED_PAD src0_sel:WORD_1 src1_sel:WORD_1
	v_sub_f16_e32 v20, v1, v8
	v_sub_f16_sdwa v1, v1, v8 dst_sel:DWORD dst_unused:UNUSED_PAD src0_sel:WORD_1 src1_sel:WORD_1
	global_load_dword v8, v[9:10], off offset:1192
	v_fma_f16 v21, v20, v11, v18
	v_fma_f16 v22, v19, v11, v1
	v_fma_f16 v18, -v20, v11, v18
	v_fma_f16 v1, v19, v11, -v1
	v_fma_f16 v11, -v12, v19, v21
	v_fmac_f16_e32 v22, v20, v12
	v_fmac_f16_e32 v18, v12, v19
	v_fmac_f16_e32 v1, v20, v12
	s_waitcnt vmcnt(6)
	v_lshrrev_b32_e32 v12, 16, v13
	v_pack_b32_f16 v11, v11, v22
	;; [unrolled: 22-line block ×3, first 2 shown]
	v_pack_b32_f16 v1, v18, v1
	ds_write_b32 v28, v12 offset:1296
	ds_write_b32 v6, v1 offset:8424
	ds_read_b32 v1, v28 offset:1620
	ds_read_b32 v12, v6 offset:8100
	global_load_dword v9, v[9:10], off offset:1840
	s_waitcnt lgkmcnt(0)
	v_add_f16_e32 v18, v1, v12
	v_add_f16_sdwa v19, v12, v1 dst_sel:DWORD dst_unused:UNUSED_PAD src0_sel:WORD_1 src1_sel:WORD_1
	v_sub_f16_e32 v20, v1, v12
	v_sub_f16_sdwa v1, v1, v12 dst_sel:DWORD dst_unused:UNUSED_PAD src0_sel:WORD_1 src1_sel:WORD_1
	v_fma_f16 v10, v20, v13, v18
	v_fma_f16 v12, v19, v13, v1
	v_fma_f16 v18, -v20, v13, v18
	v_fma_f16 v1, v19, v13, -v1
	v_fma_f16 v10, -v14, v19, v10
	v_fmac_f16_e32 v12, v20, v14
	v_fmac_f16_e32 v18, v14, v19
	;; [unrolled: 1-line block ×3, first 2 shown]
	v_pack_b32_f16 v10, v10, v12
	s_waitcnt vmcnt(6)
	v_lshrrev_b32_e32 v12, 16, v15
	v_pack_b32_f16 v1, v18, v1
	ds_write_b32 v28, v10 offset:1620
	ds_write_b32 v6, v1 offset:8100
	ds_read_b32 v1, v28 offset:1944
	ds_read_b32 v10, v6 offset:7776
	s_waitcnt lgkmcnt(0)
	v_add_f16_e32 v13, v1, v10
	v_add_f16_sdwa v14, v10, v1 dst_sel:DWORD dst_unused:UNUSED_PAD src0_sel:WORD_1 src1_sel:WORD_1
	v_sub_f16_e32 v18, v1, v10
	v_sub_f16_sdwa v1, v1, v10 dst_sel:DWORD dst_unused:UNUSED_PAD src0_sel:WORD_1 src1_sel:WORD_1
	global_load_dword v10, v[4:5], off offset:116
	v_fma_f16 v19, v18, v12, v13
	v_fma_f16 v20, v14, v12, v1
	v_fma_f16 v13, -v18, v12, v13
	v_fma_f16 v1, v14, v12, -v1
	v_fma_f16 v12, -v15, v14, v19
	v_fmac_f16_e32 v20, v18, v15
	v_fmac_f16_e32 v13, v15, v14
	;; [unrolled: 1-line block ×3, first 2 shown]
	v_mul_lo_u16 v19, 0xcd, v24
	v_mul_lo_u16 v24, 0x89, v24
	v_pack_b32_f16 v12, v12, v20
	v_pack_b32_f16 v1, v13, v1
	ds_write_b32 v28, v12 offset:1944
	ds_write_b32 v6, v1 offset:7776
	ds_read_b32 v1, v28 offset:2268
	ds_read_b32 v12, v6 offset:7452
	global_load_dword v4, v[4:5], off offset:440
	s_waitcnt vmcnt(7)
	v_lshrrev_b32_e32 v13, 16, v16
	v_lshrrev_b16 v27, 11, v19
	s_waitcnt lgkmcnt(0)
	v_add_f16_e32 v14, v1, v12
	v_add_f16_sdwa v15, v12, v1 dst_sel:DWORD dst_unused:UNUSED_PAD src0_sel:WORD_1 src1_sel:WORD_1
	v_sub_f16_e32 v18, v1, v12
	v_sub_f16_sdwa v1, v1, v12 dst_sel:DWORD dst_unused:UNUSED_PAD src0_sel:WORD_1 src1_sel:WORD_1
	v_fma_f16 v5, v18, v13, v14
	v_fma_f16 v12, v15, v13, v1
	v_fma_f16 v14, -v18, v13, v14
	v_fma_f16 v1, v15, v13, -v1
	v_fma_f16 v5, -v16, v15, v5
	v_fmac_f16_e32 v12, v18, v16
	v_fmac_f16_e32 v14, v16, v15
	;; [unrolled: 1-line block ×3, first 2 shown]
	v_pack_b32_f16 v5, v5, v12
	s_waitcnt vmcnt(6)
	v_lshrrev_b32_e32 v12, 16, v17
	v_pack_b32_f16 v1, v14, v1
	ds_write_b32 v28, v5 offset:2268
	ds_write_b32 v6, v1 offset:7452
	ds_read_b32 v1, v28 offset:2592
	ds_read_b32 v5, v6 offset:7128
	s_waitcnt lgkmcnt(0)
	v_add_f16_e32 v13, v1, v5
	v_add_f16_sdwa v14, v5, v1 dst_sel:DWORD dst_unused:UNUSED_PAD src0_sel:WORD_1 src1_sel:WORD_1
	v_sub_f16_e32 v15, v1, v5
	v_sub_f16_sdwa v1, v1, v5 dst_sel:DWORD dst_unused:UNUSED_PAD src0_sel:WORD_1 src1_sel:WORD_1
	v_fma_f16 v5, v15, v12, v13
	v_fma_f16 v16, v14, v12, v1
	v_fma_f16 v13, -v15, v12, v13
	v_fma_f16 v1, v14, v12, -v1
	v_fma_f16 v5, -v17, v14, v5
	v_fmac_f16_e32 v16, v15, v17
	v_fmac_f16_e32 v13, v17, v14
	;; [unrolled: 1-line block ×3, first 2 shown]
	v_pack_b32_f16 v5, v5, v16
	v_pack_b32_f16 v1, v13, v1
	ds_write_b32 v28, v5 offset:2592
	ds_write_b32 v6, v1 offset:7128
	ds_read_b32 v1, v28 offset:2916
	ds_read_b32 v5, v6 offset:6804
	s_waitcnt lgkmcnt(0)
	v_add_f16_e32 v13, v1, v5
	v_add_f16_sdwa v14, v5, v1 dst_sel:DWORD dst_unused:UNUSED_PAD src0_sel:WORD_1 src1_sel:WORD_1
	v_sub_f16_e32 v15, v1, v5
	v_sub_f16_sdwa v1, v1, v5 dst_sel:DWORD dst_unused:UNUSED_PAD src0_sel:WORD_1 src1_sel:WORD_1
	s_waitcnt vmcnt(5)
	v_lshrrev_b32_e32 v12, 16, v7
	v_fma_f16 v5, v15, v12, v13
	v_fma_f16 v16, v14, v12, v1
	v_fma_f16 v13, -v15, v12, v13
	v_fma_f16 v1, v14, v12, -v1
	v_fma_f16 v5, -v7, v14, v5
	v_fmac_f16_e32 v16, v15, v7
	v_fmac_f16_e32 v13, v7, v14
	;; [unrolled: 1-line block ×3, first 2 shown]
	v_pack_b32_f16 v5, v5, v16
	v_mov_b32_e32 v16, 0xcccd
	v_pack_b32_f16 v1, v13, v1
	ds_write_b32 v28, v5 offset:2916
	ds_write_b32 v6, v1 offset:6804
	ds_read_b32 v1, v28 offset:3240
	ds_read_b32 v5, v6 offset:6480
	v_mul_u32_u24_sdwa v23, v41, v16 dst_sel:DWORD dst_unused:UNUSED_PAD src0_sel:WORD_0 src1_sel:DWORD
	s_waitcnt lgkmcnt(0)
	v_add_f16_e32 v12, v1, v5
	v_add_f16_sdwa v13, v5, v1 dst_sel:DWORD dst_unused:UNUSED_PAD src0_sel:WORD_1 src1_sel:WORD_1
	s_waitcnt vmcnt(4)
	v_lshrrev_b32_e32 v7, 16, v8
	v_sub_f16_e32 v14, v1, v5
	v_sub_f16_sdwa v1, v1, v5 dst_sel:DWORD dst_unused:UNUSED_PAD src0_sel:WORD_1 src1_sel:WORD_1
	v_fma_f16 v5, v14, v7, v12
	v_fma_f16 v15, v13, v7, v1
	v_fma_f16 v12, -v14, v7, v12
	v_fma_f16 v1, v13, v7, -v1
	v_fma_f16 v5, -v8, v13, v5
	v_fmac_f16_e32 v15, v14, v8
	v_fmac_f16_e32 v12, v8, v13
	;; [unrolled: 1-line block ×3, first 2 shown]
	v_pack_b32_f16 v5, v5, v15
	v_pack_b32_f16 v1, v12, v1
	ds_write_b32 v28, v5 offset:3240
	ds_write_b32 v6, v1 offset:6480
	ds_read_b32 v1, v28 offset:3564
	ds_read_b32 v5, v6 offset:6156
	s_waitcnt lgkmcnt(0)
	v_add_f16_e32 v8, v1, v5
	s_waitcnt vmcnt(3)
	v_lshrrev_b32_e32 v7, 16, v11
	v_add_f16_sdwa v12, v5, v1 dst_sel:DWORD dst_unused:UNUSED_PAD src0_sel:WORD_1 src1_sel:WORD_1
	v_sub_f16_e32 v13, v1, v5
	v_sub_f16_sdwa v1, v1, v5 dst_sel:DWORD dst_unused:UNUSED_PAD src0_sel:WORD_1 src1_sel:WORD_1
	v_fma_f16 v5, v13, v7, v8
	v_fma_f16 v14, v12, v7, v1
	v_fma_f16 v8, -v13, v7, v8
	v_fma_f16 v1, v12, v7, -v1
	v_fma_f16 v5, -v11, v12, v5
	v_fmac_f16_e32 v14, v13, v11
	v_fmac_f16_e32 v8, v11, v12
	;; [unrolled: 1-line block ×3, first 2 shown]
	v_pack_b32_f16 v5, v5, v14
	v_pack_b32_f16 v1, v8, v1
	ds_write_b32 v28, v5 offset:3564
	ds_write_b32 v6, v1 offset:6156
	ds_read_b32 v1, v28 offset:3888
	ds_read_b32 v5, v6 offset:5832
	s_waitcnt vmcnt(2)
	v_lshrrev_b32_e32 v7, 16, v9
	s_waitcnt lgkmcnt(0)
	v_add_f16_e32 v8, v1, v5
	v_add_f16_sdwa v11, v5, v1 dst_sel:DWORD dst_unused:UNUSED_PAD src0_sel:WORD_1 src1_sel:WORD_1
	v_sub_f16_e32 v12, v1, v5
	v_sub_f16_sdwa v1, v1, v5 dst_sel:DWORD dst_unused:UNUSED_PAD src0_sel:WORD_1 src1_sel:WORD_1
	v_fma_f16 v5, v12, v7, v8
	v_fma_f16 v13, v11, v7, v1
	v_fma_f16 v8, -v12, v7, v8
	v_fma_f16 v1, v11, v7, -v1
	v_fma_f16 v5, -v9, v11, v5
	v_fmac_f16_e32 v13, v12, v9
	v_fmac_f16_e32 v8, v9, v11
	;; [unrolled: 1-line block ×3, first 2 shown]
	v_pack_b32_f16 v5, v5, v13
	v_pack_b32_f16 v1, v8, v1
	ds_write_b32 v28, v5 offset:3888
	ds_write_b32 v6, v1 offset:5832
	ds_read_b32 v1, v28 offset:4212
	ds_read_b32 v5, v6 offset:5508
	s_waitcnt vmcnt(1)
	v_lshrrev_b32_e32 v7, 16, v10
	s_waitcnt lgkmcnt(0)
	v_add_f16_e32 v8, v1, v5
	v_add_f16_sdwa v9, v5, v1 dst_sel:DWORD dst_unused:UNUSED_PAD src0_sel:WORD_1 src1_sel:WORD_1
	v_sub_f16_e32 v11, v1, v5
	v_sub_f16_sdwa v1, v1, v5 dst_sel:DWORD dst_unused:UNUSED_PAD src0_sel:WORD_1 src1_sel:WORD_1
	v_fma_f16 v5, v11, v7, v8
	v_fma_f16 v12, v9, v7, v1
	v_fma_f16 v8, -v11, v7, v8
	v_fma_f16 v7, v9, v7, -v1
	v_add_nc_u32_e32 v1, 0x600, v28
	v_fma_f16 v5, -v10, v9, v5
	v_fmac_f16_e32 v12, v11, v10
	v_fmac_f16_e32 v8, v10, v9
	;; [unrolled: 1-line block ×3, first 2 shown]
	v_pack_b32_f16 v5, v5, v12
	v_pack_b32_f16 v7, v8, v7
	ds_write_b32 v28, v5 offset:4212
	ds_write_b32 v6, v7 offset:5508
	ds_read_b32 v5, v28 offset:4536
	ds_read_b32 v7, v6 offset:5184
	v_mul_u32_u24_e32 v8, 10, v0
	s_waitcnt vmcnt(0)
	v_lshrrev_b32_e32 v9, 16, v4
	s_waitcnt lgkmcnt(0)
	v_add_f16_e32 v10, v5, v7
	v_add_f16_sdwa v11, v7, v5 dst_sel:DWORD dst_unused:UNUSED_PAD src0_sel:WORD_1 src1_sel:WORD_1
	v_sub_f16_e32 v12, v5, v7
	v_sub_f16_sdwa v5, v5, v7 dst_sel:DWORD dst_unused:UNUSED_PAD src0_sel:WORD_1 src1_sel:WORD_1
	v_lshl_add_u32 v7, v8, 2, 0
	v_fma_f16 v8, v12, v9, v10
	v_fma_f16 v13, v11, v9, v5
	v_fma_f16 v10, -v12, v9, v10
	v_fma_f16 v5, v11, v9, -v5
	v_add_nc_u32_e32 v66, 0xca8, v7
	v_fma_f16 v8, -v4, v11, v8
	v_fmac_f16_e32 v13, v12, v4
	v_fmac_f16_e32 v10, v4, v11
	;; [unrolled: 1-line block ×3, first 2 shown]
	v_add_nc_u32_e32 v67, 0xcb0, v7
	v_add_nc_u32_e32 v68, 0xcc0, v7
	v_pack_b32_f16 v8, v8, v13
	v_add_nc_u32_e32 v69, 0xcc8, v7
	v_pack_b32_f16 v9, v10, v5
	ds_write_b32 v28, v8 offset:4536
	ds_write_b32 v6, v9 offset:5184
	s_waitcnt lgkmcnt(0)
	s_barrier
	buffer_gl0_inv
	s_barrier
	buffer_gl0_inv
	ds_read2_b32 v[8:9], v1 offset0:102 offset1:183
	ds_read2_b32 v[10:11], v30 offset0:76 offset1:157
	;; [unrolled: 1-line block ×4, first 2 shown]
	ds_read2_b32 v[17:18], v28 offset1:81
	ds_read2_b32 v[19:20], v33 offset0:110 offset1:191
	ds_read2_b32 v[21:22], v34 offset0:84 offset1:165
	ds_read2_b32 v[49:50], v28 offset0:162 offset1:243
	ds_read2_b32 v[51:52], v32 offset0:136 offset1:217
	ds_read2_b32 v[58:59], v35 offset0:58 offset1:139
	ds_read2_b32 v[53:54], v37 offset0:68 offset1:149
	ds_read2_b32 v[55:56], v40 offset0:42 offset1:123
	ds_read2_b32 v[60:61], v36 offset0:16 offset1:97
	ds_read2_b32 v[62:63], v38 offset0:118 offset1:199
	ds_read2_b32 v[64:65], v39 offset0:92 offset1:173
	v_mul_u32_u24_sdwa v5, v42, v16 dst_sel:DWORD dst_unused:UNUSED_PAD src0_sel:WORD_0 src1_sel:DWORD
	v_add_nc_u32_e32 v6, 0xcb8, v7
	v_add_nc_u32_e32 v70, 0x1950, v7
	;; [unrolled: 1-line block ×4, first 2 shown]
	s_waitcnt lgkmcnt(0)
	s_barrier
	buffer_gl0_inv
	v_mul_u32_u24_sdwa v4, v43, v16 dst_sel:DWORD dst_unused:UNUSED_PAD src0_sel:WORD_0 src1_sel:DWORD
	v_add_f16_e32 v86, v20, v22
	v_add_f16_sdwa v104, v20, v22 dst_sel:DWORD dst_unused:UNUSED_PAD src0_sel:WORD_1 src1_sel:WORD_1
	v_pk_add_f16 v88, v50, v52
	v_add_f16_e32 v117, v52, v59
	v_sub_f16_e32 v76, v8, v10
	v_add_f16_e32 v57, v10, v12
	v_sub_f16_sdwa v73, v8, v14 dst_sel:DWORD dst_unused:UNUSED_PAD src0_sel:WORD_1 src1_sel:WORD_1
	v_pk_add_f16 v79, v17, v8
	v_sub_f16_sdwa v74, v10, v12 dst_sel:DWORD dst_unused:UNUSED_PAD src0_sel:WORD_1 src1_sel:WORD_1
	v_add_f16_e32 v77, v8, v14
	v_sub_f16_e32 v78, v10, v8
	v_add_f16_sdwa v80, v10, v12 dst_sel:DWORD dst_unused:UNUSED_PAD src0_sel:WORD_1 src1_sel:WORD_1
	v_sub_f16_e32 v81, v8, v14
	v_sub_f16_e32 v82, v10, v12
	v_sub_f16_sdwa v83, v8, v10 dst_sel:DWORD dst_unused:UNUSED_PAD src0_sel:WORD_1 src1_sel:WORD_1
	v_add_f16_sdwa v85, v8, v14 dst_sel:DWORD dst_unused:UNUSED_PAD src0_sel:WORD_1 src1_sel:WORD_1
	v_sub_f16_sdwa v8, v10, v8 dst_sel:DWORD dst_unused:UNUSED_PAD src0_sel:WORD_1 src1_sel:WORD_1
	v_add_f16_e32 v89, v11, v13
	v_add_f16_e32 v93, v9, v15
	;; [unrolled: 1-line block ×3, first 2 shown]
	v_pk_add_f16 v123, v54, v56
	v_add_f16_e32 v124, v60, v62
	v_pk_add_f16 v10, v79, v10
	v_add_f16_e32 v79, v55, v64
	v_sub_f16_e32 v75, v14, v12
	v_sub_f16_sdwa v84, v14, v12 dst_sel:DWORD dst_unused:UNUSED_PAD src0_sel:WORD_1 src1_sel:WORD_1
	v_pk_add_f16 v101, v49, v51
	v_sub_f16_e32 v102, v52, v20
	v_pk_add_f16 v122, v53, v55
	v_add_f16_e32 v132, v61, v63
	v_sub_f16_sdwa v133, v61, v63 dst_sel:DWORD dst_unused:UNUSED_PAD src0_sel:WORD_1 src1_sel:WORD_1
	v_sub_f16_e32 v134, v56, v61
	v_sub_f16_e32 v135, v61, v56
	v_add_f16_sdwa v136, v61, v63 dst_sel:DWORD dst_unused:UNUSED_PAD src0_sel:WORD_1 src1_sel:WORD_1
	v_sub_f16_e32 v137, v61, v63
	v_sub_f16_sdwa v138, v56, v61 dst_sel:DWORD dst_unused:UNUSED_PAD src0_sel:WORD_1 src1_sel:WORD_1
	v_sub_f16_sdwa v139, v61, v56 dst_sel:DWORD dst_unused:UNUSED_PAD src0_sel:WORD_1 src1_sel:WORD_1
	v_pk_add_f16 v61, v123, v61
	v_lshrrev_b32_e32 v123, 16, v17
	v_fma_f16 v141, -0.5, v57, v17
	v_fma_f16 v17, -0.5, v77, v17
	;; [unrolled: 1-line block ×4, first 2 shown]
	v_lshrrev_b32_e32 v93, 16, v50
	v_fma_f16 v86, -0.5, v86, v50
	v_fma_f16 v50, -0.5, v117, v50
	v_fma_f16 v117, -0.5, v120, v49
	v_lshrrev_b32_e32 v120, 16, v53
	v_fma_f16 v124, -0.5, v124, v53
	v_fma_f16 v79, -0.5, v79, v53
	v_sub_f16_e32 v53, v59, v22
	v_sub_f16_e32 v103, v20, v52
	v_sub_f16_sdwa v106, v52, v20 dst_sel:DWORD dst_unused:UNUSED_PAD src0_sel:WORD_1 src1_sel:WORD_1
	v_sub_f16_sdwa v107, v20, v52 dst_sel:DWORD dst_unused:UNUSED_PAD src0_sel:WORD_1 src1_sel:WORD_1
	v_add_f16_e32 v108, v19, v21
	v_sub_f16_sdwa v109, v19, v21 dst_sel:DWORD dst_unused:UNUSED_PAD src0_sel:WORD_1 src1_sel:WORD_1
	v_sub_f16_e32 v110, v51, v19
	v_sub_f16_e32 v111, v19, v51
	v_add_f16_sdwa v112, v19, v21 dst_sel:DWORD dst_unused:UNUSED_PAD src0_sel:WORD_1 src1_sel:WORD_1
	v_sub_f16_e32 v113, v19, v21
	v_sub_f16_sdwa v114, v51, v19 dst_sel:DWORD dst_unused:UNUSED_PAD src0_sel:WORD_1 src1_sel:WORD_1
	v_sub_f16_sdwa v115, v19, v51 dst_sel:DWORD dst_unused:UNUSED_PAD src0_sel:WORD_1 src1_sel:WORD_1
	;; [unrolled: 1-line block ×3, first 2 shown]
	v_sub_f16_e32 v118, v52, v59
	v_add_f16_sdwa v52, v52, v59 dst_sel:DWORD dst_unused:UNUSED_PAD src0_sel:WORD_1 src1_sel:WORD_1
	v_pk_add_f16 v19, v101, v19
	v_add_f16_e32 v101, v56, v65
	v_add_f16_e32 v75, v76, v75
	v_add_f16_e32 v76, v83, v84
	v_add_f16_e32 v83, v102, v53
	v_sub_f16_sdwa v53, v12, v14 dst_sel:DWORD dst_unused:UNUSED_PAD src0_sel:WORD_1 src1_sel:WORD_1
	v_sub_f16_e32 v94, v11, v9
	v_fma_f16 v132, -0.5, v132, v54
	v_fma_f16 v101, -0.5, v101, v54
	v_lshrrev_b32_e32 v142, 16, v54
	v_sub_f16_sdwa v54, v59, v22 dst_sel:DWORD dst_unused:UNUSED_PAD src0_sel:WORD_1 src1_sel:WORD_1
	v_add_f16_e32 v8, v8, v53
	v_sub_f16_sdwa v53, v22, v59 dst_sel:DWORD dst_unused:UNUSED_PAD src0_sel:WORD_1 src1_sel:WORD_1
	v_fma_f16 v104, -0.5, v104, v93
	v_fmac_f16_e32 v93, -0.5, v52
	v_sub_f16_e32 v52, v13, v15
	v_sub_f16_sdwa v90, v9, v15 dst_sel:DWORD dst_unused:UNUSED_PAD src0_sel:WORD_1 src1_sel:WORD_1
	v_sub_f16_e32 v92, v9, v11
	v_pk_add_f16 v95, v18, v9
	v_add_f16_sdwa v96, v11, v13 dst_sel:DWORD dst_unused:UNUSED_PAD src0_sel:WORD_1 src1_sel:WORD_1
	v_sub_f16_sdwa v98, v9, v11 dst_sel:DWORD dst_unused:UNUSED_PAD src0_sel:WORD_1 src1_sel:WORD_1
	v_sub_f16_sdwa v99, v11, v9 dst_sel:DWORD dst_unused:UNUSED_PAD src0_sel:WORD_1 src1_sel:WORD_1
	v_sub_f16_e32 v100, v9, v15
	v_add_f16_sdwa v9, v9, v15 dst_sel:DWORD dst_unused:UNUSED_PAD src0_sel:WORD_1 src1_sel:WORD_1
	v_lshrrev_b32_e32 v18, 16, v18
	v_add_f16_e32 v102, v106, v54
	v_add_f16_e32 v106, v107, v53
	v_sub_f16_sdwa v53, v15, v13 dst_sel:DWORD dst_unused:UNUSED_PAD src0_sel:WORD_1 src1_sel:WORD_1
	v_add_f16_e32 v94, v94, v52
	v_sub_f16_sdwa v52, v13, v15 dst_sel:DWORD dst_unused:UNUSED_PAD src0_sel:WORD_1 src1_sel:WORD_1
	v_sub_f16_e32 v126, v55, v60
	v_sub_f16_e32 v127, v60, v55
	v_sub_f16_sdwa v130, v55, v60 dst_sel:DWORD dst_unused:UNUSED_PAD src0_sel:WORD_1 src1_sel:WORD_1
	v_add_f16_e32 v98, v98, v53
	v_sub_f16_e32 v53, v64, v62
	v_fma_f16 v96, -0.5, v96, v18
	v_fmac_f16_e32 v18, -0.5, v9
	v_sub_f16_e32 v9, v62, v64
	v_add_f16_e32 v99, v99, v52
	v_sub_f16_sdwa v52, v64, v62 dst_sel:DWORD dst_unused:UNUSED_PAD src0_sel:WORD_1 src1_sel:WORD_1
	v_sub_f16_sdwa v131, v60, v55 dst_sel:DWORD dst_unused:UNUSED_PAD src0_sel:WORD_1 src1_sel:WORD_1
	v_sub_f16_e32 v57, v12, v14
	v_sub_f16_e32 v54, v22, v59
	v_add_f16_e32 v107, v126, v53
	v_lshrrev_b32_e32 v53, 19, v23
	v_add_f16_e32 v9, v127, v9
	v_sub_f16_sdwa v23, v62, v64 dst_sel:DWORD dst_unused:UNUSED_PAD src0_sel:WORD_1 src1_sel:WORD_1
	v_add_f16_e32 v127, v130, v52
	v_sub_f16_e32 v52, v58, v21
	v_sub_f16_sdwa v91, v11, v13 dst_sel:DWORD dst_unused:UNUSED_PAD src0_sel:WORD_1 src1_sel:WORD_1
	v_sub_f16_e32 v97, v11, v13
	v_add_f16_sdwa v128, v60, v62 dst_sel:DWORD dst_unused:UNUSED_PAD src0_sel:WORD_1 src1_sel:WORD_1
	v_sub_f16_sdwa v140, v55, v64 dst_sel:DWORD dst_unused:UNUSED_PAD src0_sel:WORD_1 src1_sel:WORD_1
	v_pk_add_f16 v11, v95, v11
	v_sub_f16_e32 v95, v55, v64
	v_add_f16_sdwa v55, v55, v64 dst_sel:DWORD dst_unused:UNUSED_PAD src0_sel:WORD_1 src1_sel:WORD_1
	v_mul_lo_u16 v84, 0xcd, v25
	v_add_f16_e32 v78, v78, v57
	v_add_f16_e32 v103, v103, v54
	v_sub_f16_e32 v54, v15, v13
	v_mul_lo_u16 v57, 0xcd, v26
	v_add_f16_e32 v23, v131, v23
	v_sub_f16_e32 v131, v21, v58
	v_add_f16_e32 v110, v110, v52
	v_sub_f16_sdwa v52, v58, v21 dst_sel:DWORD dst_unused:UNUSED_PAD src0_sel:WORD_1 src1_sel:WORD_1
	v_sub_f16_sdwa v87, v20, v22 dst_sel:DWORD dst_unused:UNUSED_PAD src0_sel:WORD_1 src1_sel:WORD_1
	v_sub_f16_e32 v105, v20, v22
	v_sub_f16_sdwa v119, v51, v58 dst_sel:DWORD dst_unused:UNUSED_PAD src0_sel:WORD_1 src1_sel:WORD_1
	v_sub_f16_e32 v121, v51, v58
	v_add_f16_sdwa v51, v51, v58 dst_sel:DWORD dst_unused:UNUSED_PAD src0_sel:WORD_1 src1_sel:WORD_1
	v_sub_f16_sdwa v125, v60, v62 dst_sel:DWORD dst_unused:UNUSED_PAD src0_sel:WORD_1 src1_sel:WORD_1
	v_sub_f16_e32 v129, v60, v62
	v_pk_add_f16 v20, v88, v20
	v_pk_add_f16 v60, v122, v60
	v_fma_f16 v108, -0.5, v108, v49
	v_lshrrev_b32_e32 v49, 16, v49
	v_add_f16_e32 v92, v92, v54
	v_fma_f16 v128, -0.5, v128, v120
	v_fmac_f16_e32 v120, -0.5, v55
	v_lshrrev_b16 v54, 11, v84
	v_lshrrev_b16 v55, 11, v57
	v_add_f16_e32 v84, v111, v131
	v_sub_f16_sdwa v57, v21, v58 dst_sel:DWORD dst_unused:UNUSED_PAD src0_sel:WORD_1 src1_sel:WORD_1
	v_add_f16_e32 v111, v114, v52
	v_sub_f16_e32 v52, v65, v63
	v_fma_f16 v80, -0.5, v80, v123
	v_fmac_f16_e32 v123, -0.5, v85
	v_pk_add_f16 v10, v10, v12
	v_pk_add_f16 v11, v11, v13
	;; [unrolled: 1-line block ×3, first 2 shown]
	v_sub_f16_sdwa v88, v56, v65 dst_sel:DWORD dst_unused:UNUSED_PAD src0_sel:WORD_1 src1_sel:WORD_1
	v_sub_f16_e32 v122, v56, v65
	v_add_f16_sdwa v56, v56, v65 dst_sel:DWORD dst_unused:UNUSED_PAD src0_sel:WORD_1 src1_sel:WORD_1
	v_fma_f16 v112, -0.5, v112, v49
	v_fmac_f16_e32 v49, -0.5, v51
	v_sub_f16_e32 v51, v63, v65
	v_add_f16_e32 v114, v115, v57
	v_mul_lo_u16 v115, v54, 10
	v_add_f16_e32 v131, v134, v52
	v_sub_f16_sdwa v134, v65, v63 dst_sel:DWORD dst_unused:UNUSED_PAD src0_sel:WORD_1 src1_sel:WORD_1
	v_pk_add_f16 v12, v20, v22
	v_pk_add_f16 v19, v60, v62
	;; [unrolled: 1-line block ×3, first 2 shown]
	v_fmamk_f16 v61, v74, 0xbb9c, v17
	v_fmac_f16_e32 v17, 0x3b9c, v74
	v_fmamk_f16 v62, v82, 0x3b9c, v123
	v_fmac_f16_e32 v123, 0xbb9c, v82
	v_pk_add_f16 v10, v10, v14
	v_fmamk_f16 v14, v105, 0x3b9c, v93
	v_fmac_f16_e32 v93, 0xbb9c, v105
	v_pk_add_f16 v13, v13, v58
	v_fmamk_f16 v58, v90, 0x3b9c, v77
	v_fmac_f16_e32 v77, 0xbb9c, v90
	v_mul_lo_u16 v130, v27, 10
	v_add_f16_e32 v51, v135, v51
	v_sub_nc_u16 v52, v48, v115
	v_add_f16_e32 v115, v138, v134
	v_sub_f16_sdwa v134, v63, v65 dst_sel:DWORD dst_unused:UNUSED_PAD src0_sel:WORD_1 src1_sel:WORD_1
	v_fma_f16 v135, -0.5, v136, v142
	v_fmac_f16_e32 v142, -0.5, v56
	v_fmamk_f16 v21, v116, 0x3b9c, v86
	v_fmamk_f16 v63, v87, 0xbb9c, v50
	v_fmac_f16_e32 v50, 0x3b9c, v87
	v_pk_add_f16 v12, v12, v59
	v_fmamk_f16 v59, v91, 0xbb9c, v89
	v_fmac_f16_e32 v89, 0x3b9c, v91
	v_pk_add_f16 v19, v19, v64
	v_pk_add_f16 v20, v20, v65
	v_fmamk_f16 v64, v100, 0xbb9c, v96
	v_fmac_f16_e32 v96, 0x3b9c, v100
	v_fmamk_f16 v65, v97, 0x3b9c, v18
	v_fmac_f16_e32 v18, 0xbb9c, v97
	v_pk_add_f16 v11, v11, v15
	v_fmac_f16_e32 v86, 0xbb9c, v116
	v_fmamk_f16 v15, v118, 0xbb9c, v104
	v_fmac_f16_e32 v104, 0x3b9c, v118
	v_fmamk_f16 v22, v73, 0x3b9c, v141
	v_fmamk_f16 v60, v81, 0xbb9c, v80
	v_fmac_f16_e32 v141, 0xbb9c, v73
	v_fmac_f16_e32 v80, 0x3b9c, v81
	;; [unrolled: 1-line block ×4, first 2 shown]
	v_fmamk_f16 v73, v140, 0x3b9c, v124
	v_fmac_f16_e32 v124, 0xbb9c, v140
	v_fmac_f16_e32 v62, 0xb8b4, v81
	v_fmac_f16_e32 v123, 0x38b4, v81
	v_fmamk_f16 v81, v125, 0xbb9c, v79
	v_fmac_f16_e32 v79, 0x3b9c, v125
	v_fmac_f16_e32 v14, 0xb8b4, v118
	v_fmac_f16_e32 v93, 0x38b4, v118
	;; [unrolled: 4-line block ×3, first 2 shown]
	v_fmamk_f16 v91, v88, 0x3b9c, v132
	v_sub_nc_u16 v57, v0, v130
	v_mul_lo_u16 v130, v55, 10
	v_fmac_f16_e32 v63, 0x38b4, v116
	v_fmac_f16_e32 v50, 0xb8b4, v116
	v_fmamk_f16 v116, v95, 0xbb9c, v128
	v_fmac_f16_e32 v128, 0x3b9c, v95
	v_fmac_f16_e32 v21, 0x38b4, v87
	;; [unrolled: 1-line block ×5, first 2 shown]
	v_fmamk_f16 v90, v133, 0xbb9c, v101
	v_fmac_f16_e32 v101, 0x3b9c, v133
	v_fmac_f16_e32 v64, 0xb8b4, v97
	v_fmac_f16_e32 v96, 0x38b4, v97
	v_fmamk_f16 v97, v122, 0xbb9c, v135
	v_fmac_f16_e32 v135, 0x3b9c, v122
	v_fmac_f16_e32 v65, 0xb8b4, v100
	v_fmac_f16_e32 v18, 0x38b4, v100
	;; [unrolled: 4-line block ×3, first 2 shown]
	v_fmac_f16_e32 v73, 0x38b4, v125
	v_fmac_f16_e32 v124, 0xb8b4, v125
	;; [unrolled: 1-line block ×6, first 2 shown]
	v_sub_nc_u16 v56, v47, v130
	v_add_f16_e32 v130, v139, v134
	v_fmamk_f16 v87, v119, 0x3b9c, v108
	v_fmac_f16_e32 v108, 0xbb9c, v119
	v_fmac_f16_e32 v22, 0x38b4, v74
	;; [unrolled: 1-line block ×3, first 2 shown]
	v_fmamk_f16 v74, v109, 0xbb9c, v117
	v_fmac_f16_e32 v117, 0x3b9c, v109
	v_fmac_f16_e32 v15, 0xb8b4, v105
	v_fmac_f16_e32 v128, 0x38b4, v129
	v_fmac_f16_e32 v118, 0xb8b4, v95
	v_fmac_f16_e32 v132, 0xb8b4, v133
	v_fmac_f16_e32 v90, 0x38b4, v88
	v_fmac_f16_e32 v101, 0xb8b4, v88
	v_fmac_f16_e32 v135, 0x38b4, v137
	v_fmac_f16_e32 v100, 0xb8b4, v122
	v_fmac_f16_e32 v142, 0x38b4, v122
	v_fmac_f16_e32 v21, 0x34f2, v83
	v_fmac_f16_e32 v63, 0x34f2, v103
	v_fmac_f16_e32 v50, 0x34f2, v103
	v_fmac_f16_e32 v14, 0x34f2, v106
	v_fmac_f16_e32 v93, 0x34f2, v106
	v_fmac_f16_e32 v60, 0xb8b4, v82
	v_fmac_f16_e32 v80, 0x38b4, v82
	v_fmac_f16_e32 v86, 0x34f2, v83
	v_fmac_f16_e32 v104, 0x34f2, v102
	v_fmamk_f16 v82, v121, 0xbb9c, v112
	v_fmac_f16_e32 v116, 0xb8b4, v129
	v_fmac_f16_e32 v97, 0xb8b4, v137
	v_fmac_f16_e32 v73, 0x34f2, v107
	v_fmac_f16_e32 v124, 0x34f2, v107
	v_fmac_f16_e32 v81, 0x34f2, v9
	v_fmac_f16_e32 v79, 0x34f2, v9
	v_fmac_f16_e32 v120, 0x34f2, v23
	v_fmac_f16_e32 v91, 0x34f2, v131
	v_fmac_f16_e32 v112, 0x3b9c, v121
	v_fmamk_f16 v105, v113, 0x3b9c, v49
	v_fmac_f16_e32 v49, 0xbb9c, v113
	v_fmac_f16_e32 v87, 0x38b4, v109
	;; [unrolled: 1-line block ×8, first 2 shown]
	v_pk_add_f16 v8, v10, v12
	v_pk_add_f16 v10, v10, v12 neg_lo:[0,1] neg_hi:[0,1]
	v_fmac_f16_e32 v128, 0x34f2, v127
	v_fmac_f16_e32 v118, 0x34f2, v23
	v_pk_add_f16 v9, v11, v19
	v_pk_add_f16 v11, v11, v19 neg_lo:[0,1] neg_hi:[0,1]
	v_fmac_f16_e32 v132, 0x34f2, v131
	v_fmac_f16_e32 v90, 0x34f2, v51
	;; [unrolled: 1-line block ×6, first 2 shown]
	v_pk_add_f16 v12, v13, v20
	v_pk_add_f16 v13, v13, v20 neg_lo:[0,1] neg_hi:[0,1]
	v_mul_f16_e32 v19, 0x3a79, v21
	v_mul_f16_e32 v20, 0xb8b4, v21
	v_fmac_f16_e32 v22, 0x34f2, v75
	v_fmac_f16_e32 v141, 0x34f2, v75
	v_mul_f16_e32 v21, 0x34f2, v50
	v_mul_f16_e32 v23, 0x34f2, v93
	;; [unrolled: 1-line block ×4, first 2 shown]
	v_fmac_f16_e32 v61, 0x34f2, v78
	v_fmac_f16_e32 v17, 0x34f2, v78
	;; [unrolled: 1-line block ×4, first 2 shown]
	v_mul_f16_e32 v76, 0x3a79, v86
	v_mul_f16_e32 v78, 0x3a79, v104
	v_fmac_f16_e32 v82, 0xb8b4, v113
	v_fmac_f16_e32 v58, 0x34f2, v92
	;; [unrolled: 1-line block ×9, first 2 shown]
	v_mul_f16_e32 v83, 0x3a79, v73
	v_mul_f16_e32 v73, 0xb8b4, v73
	;; [unrolled: 1-line block ×8, first 2 shown]
	v_fmac_f16_e32 v112, 0x38b4, v113
	v_fmac_f16_e32 v105, 0xb8b4, v121
	;; [unrolled: 1-line block ×9, first 2 shown]
	v_mul_f16_e32 v84, 0x3b9c, v118
	v_mul_f16_e32 v98, 0x3a79, v128
	;; [unrolled: 1-line block ×8, first 2 shown]
	v_fmac_f16_e32 v19, 0x38b4, v15
	v_fmac_f16_e32 v20, 0x3a79, v15
	v_fma_f16 v15, v93, 0x3b9c, -v21
	v_fma_f16 v21, v50, 0xbb9c, -v23
	v_fmac_f16_e32 v51, 0x34f2, v63
	v_fmac_f16_e32 v75, 0x34f2, v14
	v_fma_f16 v14, v104, 0x38b4, -v76
	v_fma_f16 v23, v86, 0xb8b4, -v78
	;; [unrolled: 4-line block ×3, first 2 shown]
	v_fmac_f16_e32 v94, 0x34f2, v118
	v_fma_f16 v76, v79, 0xbb9c, -v95
	v_fmac_f16_e32 v99, 0x38b4, v97
	v_fmac_f16_e32 v91, 0x3a79, v97
	;; [unrolled: 1-line block ×7, first 2 shown]
	v_fma_f16 v78, v124, 0xb8b4, -v98
	v_fmac_f16_e32 v102, 0x34f2, v90
	v_fma_f16 v79, v142, 0x3b9c, -v103
	v_fma_f16 v81, v135, 0x38b4, -v106
	v_fmac_f16_e32 v107, 0x34f2, v100
	v_fma_f16 v86, v101, 0xbb9c, -v109
	v_fma_f16 v88, v132, 0xb8b4, -v110
	v_add_f16_e32 v90, v22, v19
	v_add_f16_e32 v92, v60, v20
	;; [unrolled: 1-line block ×8, first 2 shown]
	v_sub_f16_e32 v19, v22, v19
	v_sub_f16_e32 v22, v61, v51
	;; [unrolled: 1-line block ×8, first 2 shown]
	v_add_f16_e32 v61, v89, v50
	v_sub_f16_e32 v50, v89, v50
	v_add_f16_e32 v62, v77, v63
	v_sub_f16_e32 v63, v77, v63
	v_add_f16_e32 v75, v64, v73
	v_sub_f16_e32 v64, v64, v73
	v_add_f16_e32 v73, v65, v94
	v_sub_f16_e32 v65, v65, v94
	v_add_f16_e32 v77, v18, v76
	v_sub_f16_e32 v18, v18, v76
	v_add_f16_e32 v80, v87, v99
	v_add_f16_e32 v94, v82, v91
	;; [unrolled: 1-line block ×3, first 2 shown]
	v_sub_f16_e32 v58, v58, v83
	v_add_f16_e32 v60, v59, v84
	v_sub_f16_e32 v59, v59, v84
	v_add_f16_e32 v76, v96, v78
	v_sub_f16_e32 v78, v96, v78
	v_sub_f16_e32 v83, v87, v99
	v_add_f16_e32 v84, v74, v102
	v_sub_f16_e32 v74, v74, v102
	v_add_f16_e32 v87, v117, v79
	;; [unrolled: 2-line block ×3, first 2 shown]
	v_sub_f16_e32 v81, v108, v81
	v_sub_f16_e32 v82, v82, v91
	v_add_f16_e32 v91, v105, v107
	v_sub_f16_e32 v96, v105, v107
	v_add_f16_e32 v99, v49, v86
	;; [unrolled: 2-line block ×3, first 2 shown]
	v_sub_f16_e32 v88, v112, v88
	v_pack_b32_f16 v90, v90, v92
	v_pack_b32_f16 v92, v93, v95
	;; [unrolled: 1-line block ×10, first 2 shown]
	v_add_nc_u32_e32 v85, 0x1968, v7
	v_add_nc_u32_e32 v126, 0x1970, v7
	v_pack_b32_f16 v17, v23, v75
	v_pack_b32_f16 v21, v61, v77
	;; [unrolled: 1-line block ×14, first 2 shown]
	ds_write2_b32 v7, v8, v90 offset1:1
	ds_write2_b32 v7, v93, v92 offset0:2 offset1:3
	ds_write2_b32 v7, v95, v10 offset0:4 offset1:5
	;; [unrolled: 1-line block ×4, first 2 shown]
	ds_write2_b32 v66, v9, v17 offset1:1
	ds_write2_b32 v67, v22, v21 offset1:1
	;; [unrolled: 1-line block ×10, first 2 shown]
	v_add_nc_u32_e32 v50, 0x288, v0
	v_mul_u32_u24_sdwa v14, v44, v16 dst_sel:DWORD dst_unused:UNUSED_PAD src0_sel:WORD_0 src1_sel:DWORD
	v_lshrrev_b32_e32 v63, 19, v5
	v_mul_u32_u24_sdwa v11, v45, v16 dst_sel:DWORD dst_unused:UNUSED_PAD src0_sel:WORD_0 src1_sel:DWORD
	v_mul_lo_u16 v10, v53, 10
	v_mul_u32_u24_sdwa v15, v50, v16 dst_sel:DWORD dst_unused:UNUSED_PAD src0_sel:WORD_0 src1_sel:DWORD
	v_lshrrev_b32_e32 v67, 19, v14
	v_lshrrev_b32_e32 v62, 19, v4
	v_mul_lo_u16 v13, v63, 10
	v_lshrrev_b32_e32 v66, 19, v11
	v_add_nc_u32_e32 v49, 0x2d9, v0
	v_lshrrev_b32_e32 v72, 19, v15
	v_mul_lo_u16 v18, v67, 10
	v_sub_nc_u16 v61, v41, v10
	v_mul_lo_u16 v10, v62, 10
	v_sub_nc_u16 v65, v42, v13
	v_mul_lo_u16 v14, v66, 10
	v_mul_u32_u24_sdwa v16, v49, v16 dst_sel:DWORD dst_unused:UNUSED_PAD src0_sel:WORD_0 src1_sel:DWORD
	v_sub_nc_u16 v69, v44, v18
	v_mul_lo_u16 v20, v72, 10
	v_lshlrev_b32_sdwa v4, v46, v56 dst_sel:DWORD dst_unused:UNUSED_PAD src0_sel:DWORD src1_sel:BYTE_0
	v_lshlrev_b32_sdwa v12, v46, v61 dst_sel:DWORD dst_unused:UNUSED_PAD src0_sel:DWORD src1_sel:WORD_0
	v_sub_nc_u16 v64, v43, v10
	v_lshlrev_b32_sdwa v17, v46, v65 dst_sel:DWORD dst_unused:UNUSED_PAD src0_sel:DWORD src1_sel:WORD_0
	v_sub_nc_u16 v68, v45, v14
	v_lshrrev_b32_e32 v73, 19, v16
	v_lshlrev_b32_sdwa v16, v46, v69 dst_sel:DWORD dst_unused:UNUSED_PAD src0_sel:DWORD src1_sel:WORD_0
	v_sub_nc_u16 v70, v50, v20
	v_lshlrev_b32_sdwa v136, v46, v57 dst_sel:DWORD dst_unused:UNUSED_PAD src0_sel:DWORD src1_sel:BYTE_0
	s_waitcnt lgkmcnt(0)
	s_barrier
	buffer_gl0_inv
	s_clause 0x2
	global_load_dwordx2 v[4:5], v4, s[8:9]
	global_load_dwordx2 v[10:11], v12, s[8:9]
	global_load_dwordx2 v[20:21], v16, s[8:9]
	v_lshlrev_b32_sdwa v12, v46, v64 dst_sel:DWORD dst_unused:UNUSED_PAD src0_sel:DWORD src1_sel:WORD_0
	global_load_dwordx2 v[14:15], v17, s[8:9]
	v_lshlrev_b32_sdwa v17, v46, v68 dst_sel:DWORD dst_unused:UNUSED_PAD src0_sel:DWORD src1_sel:WORD_0
	v_lshlrev_b32_sdwa v16, v46, v70 dst_sel:DWORD dst_unused:UNUSED_PAD src0_sel:DWORD src1_sel:WORD_0
	v_lshlrev_b32_sdwa v134, v46, v52 dst_sel:DWORD dst_unused:UNUSED_PAD src0_sel:DWORD src1_sel:BYTE_0
	s_clause 0x3
	global_load_dwordx2 v[8:9], v136, s[8:9]
	global_load_dwordx2 v[12:13], v12, s[8:9]
	;; [unrolled: 1-line block ×4, first 2 shown]
	v_mul_lo_u16 v17, v73, 10
	global_load_dwordx2 v[6:7], v134, s[8:9]
	v_mov_b32_e32 v75, 0x78
	v_lshrrev_b16 v58, 12, v24
	v_mul_lo_u16 v24, 0x89, v25
	v_sub_nc_u16 v71, v49, v17
	v_mul_lo_u16 v25, 0x89, v26
	v_mul_u32_u24_sdwa v76, v27, v75 dst_sel:DWORD dst_unused:UNUSED_PAD src0_sel:WORD_0 src1_sel:DWORD
	v_mov_b32_e32 v51, 2
	v_lshrrev_b16 v27, 12, v24
	v_lshlrev_b32_sdwa v16, v46, v71 dst_sel:DWORD dst_unused:UNUSED_PAD src0_sel:DWORD src1_sel:WORD_0
	v_mul_u32_u24_e32 v77, 0x78, v53
	v_lshrrev_b16 v53, 12, v25
	v_mul_u32_u24_e32 v62, 0x78, v62
	v_mul_lo_u16 v25, v27, 30
	global_load_dwordx2 v[16:17], v16, s[8:9]
	v_mul_u32_u24_sdwa v24, v54, v75 dst_sel:DWORD dst_unused:UNUSED_PAD src0_sel:WORD_0 src1_sel:DWORD
	v_mul_u32_u24_sdwa v75, v55, v75 dst_sel:DWORD dst_unused:UNUSED_PAD src0_sel:WORD_0 src1_sel:DWORD
	v_lshlrev_b32_sdwa v61, v51, v61 dst_sel:DWORD dst_unused:UNUSED_PAD src0_sel:DWORD src1_sel:WORD_0
	v_lshlrev_b32_sdwa v64, v51, v64 dst_sel:DWORD dst_unused:UNUSED_PAD src0_sel:DWORD src1_sel:WORD_0
	v_sub_nc_u16 v55, v48, v25
	v_lshlrev_b32_sdwa v25, v51, v52 dst_sel:DWORD dst_unused:UNUSED_PAD src0_sel:DWORD src1_sel:BYTE_0
	v_lshlrev_b32_sdwa v52, v51, v56 dst_sel:DWORD dst_unused:UNUSED_PAD src0_sel:DWORD src1_sel:BYTE_0
	v_add3_u32 v56, 0, v77, v61
	v_add3_u32 v95, 0, v62, v64
	v_mul_lo_u16 v78, v58, 30
	v_add3_u32 v101, 0, v24, v25
	ds_read2_b32 v[24:25], v34 offset0:84 offset1:165
	ds_read2_b32 v[61:62], v40 offset0:42 offset1:123
	v_mul_u32_u24_e32 v63, 0x78, v63
	v_mul_u32_u24_e32 v66, 0x78, v66
	;; [unrolled: 1-line block ×5, first 2 shown]
	v_sub_nc_u16 v54, v0, v78
	v_mul_lo_u16 v78, v53, 30
	v_lshlrev_b32_sdwa v79, v51, v57 dst_sel:DWORD dst_unused:UNUSED_PAD src0_sel:DWORD src1_sel:BYTE_0
	v_lshlrev_b32_sdwa v65, v51, v65 dst_sel:DWORD dst_unused:UNUSED_PAD src0_sel:DWORD src1_sel:WORD_0
	v_lshlrev_b32_sdwa v68, v51, v68 dst_sel:DWORD dst_unused:UNUSED_PAD src0_sel:DWORD src1_sel:WORD_0
	;; [unrolled: 1-line block ×5, first 2 shown]
	v_sub_nc_u16 v57, v47, v78
	v_add3_u32 v94, 0, v76, v79
	v_add3_u32 v96, 0, v63, v65
	v_add3_u32 v97, 0, v66, v68
	v_add3_u32 v98, 0, v67, v69
	v_add3_u32 v99, 0, v72, v70
	v_add3_u32 v73, 0, v73, v71
	v_add3_u32 v52, 0, v75, v52
	ds_read2_b32 v[63:64], v30 offset0:76 offset1:157
	ds_read2_b32 v[65:66], v38 offset0:118 offset1:199
	ds_read_u16 v102, v28 offset:3242
	ds_read2_b32 v[67:68], v33 offset0:110 offset1:191
	ds_read2_b32 v[69:70], v31 offset0:152 offset1:233
	;; [unrolled: 1-line block ×6, first 2 shown]
	ds_read2_b32 v[81:82], v28 offset1:81
	ds_read2_b32 v[83:84], v28 offset0:162 offset1:243
	ds_read2_b32 v[85:86], v37 offset0:68 offset1:149
	ds_read2_b32 v[87:88], v1 offset0:102 offset1:183
	ds_read2_b32 v[89:90], v32 offset0:136 offset1:217
	s_waitcnt lgkmcnt(15)
	v_lshrrev_b32_e32 v103, 16, v24
	s_waitcnt lgkmcnt(14)
	v_lshrrev_b32_e32 v104, 16, v62
	v_lshrrev_b32_e32 v105, 16, v25
	v_mov_b32_e32 v74, 0x8889
	s_waitcnt vmcnt(0) lgkmcnt(0)
	s_barrier
	v_lshrrev_b32_e32 v106, 16, v63
	v_lshrrev_b32_e32 v107, 16, v65
	;; [unrolled: 1-line block ×26, first 2 shown]
	v_mul_u32_u24_sdwa v91, v42, v74 dst_sel:DWORD dst_unused:UNUSED_PAD src0_sel:WORD_0 src1_sel:DWORD
	v_mul_u32_u24_sdwa v59, v41, v74 dst_sel:DWORD dst_unused:UNUSED_PAD src0_sel:WORD_0 src1_sel:DWORD
	buffer_gl0_inv
	v_mul_u32_u24_sdwa v60, v43, v74 dst_sel:DWORD dst_unused:UNUSED_PAD src0_sel:WORD_0 src1_sel:DWORD
	v_lshlrev_b32_sdwa v93, v46, v54 dst_sel:DWORD dst_unused:UNUSED_PAD src0_sel:DWORD src1_sel:BYTE_0
	v_lshlrev_b32_sdwa v100, v46, v55 dst_sel:DWORD dst_unused:UNUSED_PAD src0_sel:DWORD src1_sel:BYTE_0
	v_lshrrev_b32_e32 v59, 20, v59
	v_lshrrev_b32_e32 v60, 20, v60
	v_mul_lo_u16 v92, v59, 30
	v_mul_f16_sdwa v140, v63, v4 dst_sel:DWORD dst_unused:UNUSED_PAD src0_sel:DWORD src1_sel:WORD_1
	v_fmac_f16_e32 v140, v106, v4
	v_mul_f16_sdwa v132, v8, v61 dst_sel:DWORD dst_unused:UNUSED_PAD src0_sel:WORD_1 src1_sel:DWORD
	v_mul_f16_sdwa v133, v24, v9 dst_sel:DWORD dst_unused:UNUSED_PAD src0_sel:DWORD src1_sel:WORD_1
	v_mul_f16_sdwa v135, v103, v9 dst_sel:DWORD dst_unused:UNUSED_PAD src0_sel:DWORD src1_sel:WORD_1
	;; [unrolled: 1-line block ×7, first 2 shown]
	v_fmac_f16_e32 v132, v102, v8
	v_mul_f16_sdwa v102, v65, v5 dst_sel:DWORD dst_unused:UNUSED_PAD src0_sel:DWORD src1_sel:WORD_1
	v_fmac_f16_e32 v133, v103, v9
	v_fma_f16 v9, v24, v9, -v135
	v_mul_f16_sdwa v24, v107, v5 dst_sel:DWORD dst_unused:UNUSED_PAD src0_sel:DWORD src1_sel:WORD_1
	v_mul_f16_sdwa v103, v106, v4 dst_sel:DWORD dst_unused:UNUSED_PAD src0_sel:DWORD src1_sel:WORD_1
	v_fma_f16 v8, v8, v61, -v134
	v_mul_f16_sdwa v61, v108, v10 dst_sel:DWORD dst_unused:UNUSED_PAD src0_sel:DWORD src1_sel:WORD_1
	v_fma_f16 v62, v62, v6, -v136
	v_mul_f16_sdwa v134, v109, v11 dst_sel:DWORD dst_unused:UNUSED_PAD src0_sel:DWORD src1_sel:WORD_1
	v_mul_f16_sdwa v135, v64, v10 dst_sel:DWORD dst_unused:UNUSED_PAD src0_sel:DWORD src1_sel:WORD_1
	v_fma_f16 v25, v25, v7, -v137
	v_mul_f16_sdwa v136, v66, v11 dst_sel:DWORD dst_unused:UNUSED_PAD src0_sel:DWORD src1_sel:WORD_1
	v_mul_f16_sdwa v137, v67, v12 dst_sel:DWORD dst_unused:UNUSED_PAD src0_sel:DWORD src1_sel:WORD_1
	v_fmac_f16_e32 v138, v104, v6
	v_mul_f16_sdwa v6, v69, v13 dst_sel:DWORD dst_unused:UNUSED_PAD src0_sel:DWORD src1_sel:WORD_1
	v_fmac_f16_e32 v139, v105, v7
	v_mul_f16_sdwa v7, v110, v12 dst_sel:DWORD dst_unused:UNUSED_PAD src0_sel:DWORD src1_sel:WORD_1
	v_mul_f16_sdwa v104, v111, v13 dst_sel:DWORD dst_unused:UNUSED_PAD src0_sel:DWORD src1_sel:WORD_1
	;; [unrolled: 1-line block ×3, first 2 shown]
	v_fmac_f16_e32 v102, v107, v5
	v_mul_f16_sdwa v107, v68, v14 dst_sel:DWORD dst_unused:UNUSED_PAD src0_sel:DWORD src1_sel:WORD_1
	v_fma_f16 v5, v65, v5, -v24
	v_mul_f16_sdwa v65, v114, v18 dst_sel:DWORD dst_unused:UNUSED_PAD src0_sel:DWORD src1_sel:WORD_1
	v_mul_f16_sdwa v106, v113, v15 dst_sel:DWORD dst_unused:UNUSED_PAD src0_sel:DWORD src1_sel:WORD_1
	v_fma_f16 v4, v63, v4, -v103
	v_mul_f16_sdwa v24, v70, v15 dst_sel:DWORD dst_unused:UNUSED_PAD src0_sel:DWORD src1_sel:WORD_1
	v_mul_f16_sdwa v63, v71, v18 dst_sel:DWORD dst_unused:UNUSED_PAD src0_sel:DWORD src1_sel:WORD_1
	v_fma_f16 v61, v64, v10, -v61
	v_mul_f16_sdwa v64, v75, v19 dst_sel:DWORD dst_unused:UNUSED_PAD src0_sel:DWORD src1_sel:WORD_1
	v_fma_f16 v66, v66, v11, -v134
	v_mul_f16_sdwa v103, v115, v19 dst_sel:DWORD dst_unused:UNUSED_PAD src0_sel:DWORD src1_sel:WORD_1
	v_mul_f16_sdwa v134, v116, v20 dst_sel:DWORD dst_unused:UNUSED_PAD src0_sel:DWORD src1_sel:WORD_1
	v_fmac_f16_e32 v135, v108, v10
	v_mul_f16_sdwa v10, v72, v20 dst_sel:DWORD dst_unused:UNUSED_PAD src0_sel:DWORD src1_sel:WORD_1
	v_fmac_f16_e32 v136, v109, v11
	v_mul_f16_sdwa v11, v117, v21 dst_sel:DWORD dst_unused:UNUSED_PAD src0_sel:DWORD src1_sel:WORD_1
	v_mul_f16_sdwa v108, v76, v21 dst_sel:DWORD dst_unused:UNUSED_PAD src0_sel:DWORD src1_sel:WORD_1
	;; [unrolled: 1-line block ×3, first 2 shown]
	v_fmac_f16_e32 v137, v110, v12
	v_mul_f16_sdwa v110, v118, v22 dst_sel:DWORD dst_unused:UNUSED_PAD src0_sel:DWORD src1_sel:WORD_1
	v_fmac_f16_e32 v6, v111, v13
	v_mul_f16_sdwa v111, v79, v23 dst_sel:DWORD dst_unused:UNUSED_PAD src0_sel:DWORD src1_sel:WORD_1
	v_fma_f16 v7, v67, v12, -v7
	v_fma_f16 v12, v69, v13, -v104
	v_mul_f16_sdwa v13, v119, v23 dst_sel:DWORD dst_unused:UNUSED_PAD src0_sel:DWORD src1_sel:WORD_1
	v_mul_f16_sdwa v67, v120, v16 dst_sel:DWORD dst_unused:UNUSED_PAD src0_sel:DWORD src1_sel:WORD_1
	v_fma_f16 v68, v68, v14, -v105
	v_mul_f16_sdwa v69, v78, v16 dst_sel:DWORD dst_unused:UNUSED_PAD src0_sel:DWORD src1_sel:WORD_1
	v_mul_f16_sdwa v104, v121, v17 dst_sel:DWORD dst_unused:UNUSED_PAD src0_sel:DWORD src1_sel:WORD_1
	;; [unrolled: 1-line block ×3, first 2 shown]
	v_fmac_f16_e32 v107, v112, v14
	v_fma_f16 v14, v71, v18, -v65
	v_add_f16_e32 v71, v81, v8
	v_fma_f16 v70, v70, v15, -v106
	v_fmac_f16_e32 v24, v113, v15
	v_fmac_f16_e32 v63, v114, v18
	;; [unrolled: 1-line block ×3, first 2 shown]
	v_fma_f16 v15, v75, v19, -v103
	v_fma_f16 v18, v72, v20, -v134
	;; [unrolled: 1-line block ×3, first 2 shown]
	v_fmac_f16_e32 v10, v116, v20
	v_fmac_f16_e32 v108, v117, v21
	;; [unrolled: 1-line block ×4, first 2 shown]
	v_fma_f16 v19, v77, v22, -v110
	v_fma_f16 v13, v79, v23, -v13
	;; [unrolled: 1-line block ×4, first 2 shown]
	v_fmac_f16_e32 v69, v120, v16
	v_fmac_f16_e32 v105, v121, v17
	v_add_f16_e32 v16, v62, v25
	v_add_f16_e32 v17, v82, v62
	;; [unrolled: 1-line block ×10, first 2 shown]
	v_sub_f16_e32 v8, v8, v9
	v_add_f16_e32 v104, v4, v5
	v_add_f16_e32 v112, v140, v102
	;; [unrolled: 1-line block ×4, first 2 shown]
	v_sub_f16_e32 v65, v138, v139
	v_sub_f16_e32 v62, v62, v25
	;; [unrolled: 1-line block ×3, first 2 shown]
	v_add_f16_e32 v78, v84, v61
	v_add_f16_e32 v80, v124, v135
	v_sub_f16_e32 v103, v135, v136
	v_add_f16_e32 v106, v83, v4
	v_sub_f16_e32 v113, v140, v102
	v_add_f16_e32 v114, v68, v70
	v_add_f16_e32 v116, v107, v24
	;; [unrolled: 1-line block ×8, first 2 shown]
	v_fmac_f16_e32 v82, -0.5, v16
	v_add_f16_e32 v16, v90, v20
	v_fmac_f16_e32 v122, -0.5, v22
	v_add_f16_e32 v22, v130, v69
	v_add_f16_e32 v72, v72, v133
	;; [unrolled: 1-line block ×3, first 2 shown]
	v_fmac_f16_e32 v123, -0.5, v75
	v_add_f16_e32 v75, v87, v14
	v_add_f16_e32 v17, v17, v25
	;; [unrolled: 1-line block ×3, first 2 shown]
	v_fmac_f16_e32 v84, -0.5, v77
	v_add_f16_e32 v77, v129, v63
	v_fmac_f16_e32 v124, -0.5, v79
	v_add_f16_e32 v79, v63, v64
	v_add_f16_e32 v102, v110, v102
	;; [unrolled: 1-line block ×3, first 2 shown]
	v_fma_f16 v67, -0.5, v67, v81
	v_add_f16_e32 v115, v86, v68
	v_add_f16_e32 v117, v126, v107
	;; [unrolled: 1-line block ×3, first 2 shown]
	v_sub_f16_e32 v61, v61, v66
	v_sub_f16_e32 v4, v4, v5
	;; [unrolled: 1-line block ×3, first 2 shown]
	v_add_f16_e32 v23, v23, v139
	v_fmac_f16_e32 v125, -0.5, v112
	v_add_f16_e32 v6, v71, v6
	v_fma_f16 v71, -0.5, v104, v83
	v_sub_f16_e32 v107, v107, v24
	v_sub_f16_e32 v68, v68, v70
	v_add_f16_e32 v121, v88, v18
	v_add_f16_e32 v134, v128, v10
	v_sub_f16_e32 v10, v10, v108
	v_sub_f16_e32 v18, v18, v11
	;; [unrolled: 1-line block ×5, first 2 shown]
	v_add_f16_e32 v139, v89, v19
	v_sub_f16_e32 v14, v14, v15
	v_sub_f16_e32 v63, v63, v64
	;; [unrolled: 1-line block ×3, first 2 shown]
	v_add_f16_e32 v5, v106, v5
	v_add_f16_e32 v106, v131, v109
	v_sub_f16_e32 v109, v109, v111
	v_add_f16_e32 v66, v78, v66
	v_add_f16_e32 v78, v80, v136
	v_fmac_f16_e32 v86, -0.5, v114
	v_fmac_f16_e32 v126, -0.5, v116
	;; [unrolled: 1-line block ×7, first 2 shown]
	v_add_f16_e32 v15, v75, v15
	v_add_f16_e32 v64, v77, v64
	v_fmac_f16_e32 v129, -0.5, v79
	v_fma_f16 v75, -0.5, v118, v85
	v_fma_f16 v77, -0.5, v135, v87
	;; [unrolled: 1-line block ×3, first 2 shown]
	v_fmac_f16_e32 v131, -0.5, v110
	v_add_f16_e32 v16, v16, v21
	v_add_f16_e32 v21, v22, v105
	v_fmamk_f16 v22, v65, 0x3aee, v82
	v_fmac_f16_e32 v82, 0xbaee, v65
	v_fmamk_f16 v65, v62, 0xbaee, v122
	v_fmac_f16_e32 v122, 0x3aee, v62
	v_pack_b32_f16 v9, v9, v72
	v_fmamk_f16 v62, v76, 0x3aee, v67
	v_fmamk_f16 v72, v8, 0xbaee, v123
	v_add_f16_e32 v12, v119, v12
	v_add_f16_e32 v70, v115, v70
	;; [unrolled: 1-line block ×3, first 2 shown]
	v_fmac_f16_e32 v67, 0xbaee, v76
	v_fmac_f16_e32 v123, 0x3aee, v8
	v_pack_b32_f16 v8, v17, v23
	v_fmamk_f16 v23, v61, 0xbaee, v124
	v_fmac_f16_e32 v124, 0x3aee, v61
	v_fmamk_f16 v61, v113, 0x3aee, v71
	v_fmamk_f16 v76, v4, 0xbaee, v125
	v_add_f16_e32 v11, v121, v11
	v_add_f16_e32 v79, v134, v108
	;; [unrolled: 1-line block ×4, first 2 shown]
	v_fmamk_f16 v17, v103, 0x3aee, v84
	v_fmac_f16_e32 v84, 0xbaee, v103
	v_fmac_f16_e32 v71, 0xbaee, v113
	;; [unrolled: 1-line block ×3, first 2 shown]
	v_pack_b32_f16 v4, v66, v78
	v_fmamk_f16 v66, v107, 0x3aee, v86
	v_fmac_f16_e32 v86, 0xbaee, v107
	v_fmamk_f16 v78, v68, 0xbaee, v126
	v_fmac_f16_e32 v126, 0x3aee, v68
	;; [unrolled: 2-line block ×12, first 2 shown]
	v_pack_b32_f16 v16, v16, v21
	v_pack_b32_f16 v21, v62, v72
	;; [unrolled: 1-line block ×27, first 2 shown]
	ds_write2_b32 v94, v9, v21 offset1:10
	ds_write_b32 v94, v24 offset:80
	ds_write2_b32 v101, v8, v22 offset1:10
	ds_write_b32 v101, v19 offset:80
	;; [unrolled: 2-line block ×10, first 2 shown]
	v_mul_u32_u24_sdwa v4, v45, v74 dst_sel:DWORD dst_unused:UNUSED_PAD src0_sel:WORD_0 src1_sel:DWORD
	v_lshrrev_b32_e32 v61, 20, v91
	v_mul_u32_u24_sdwa v16, v50, v74 dst_sel:DWORD dst_unused:UNUSED_PAD src0_sel:WORD_0 src1_sel:DWORD
	v_sub_nc_u16 v56, v41, v92
	v_lshlrev_b32_sdwa v5, v46, v57 dst_sel:DWORD dst_unused:UNUSED_PAD src0_sel:DWORD src1_sel:BYTE_0
	v_lshrrev_b32_e32 v64, 20, v4
	v_mul_lo_u16 v4, v61, 30
	v_lshrrev_b32_e32 v68, 20, v16
	v_mul_lo_u16 v8, v60, 30
	v_lshlrev_b32_sdwa v9, v46, v56 dst_sel:DWORD dst_unused:UNUSED_PAD src0_sel:DWORD src1_sel:WORD_0
	s_waitcnt lgkmcnt(0)
	v_sub_nc_u16 v63, v42, v4
	v_mul_lo_u16 v4, v64, 30
	s_barrier
	buffer_gl0_inv
	global_load_dwordx2 v[10:11], v5, s[8:9] offset:80
	v_sub_nc_u16 v62, v43, v8
	global_load_dwordx2 v[8:9], v9, s[8:9] offset:80
	v_sub_nc_u16 v65, v45, v4
	v_mul_u32_u24_sdwa v4, v49, v74 dst_sel:DWORD dst_unused:UNUSED_PAD src0_sel:WORD_0 src1_sel:DWORD
	v_mul_u32_u24_sdwa v5, v44, v74 dst_sel:DWORD dst_unused:UNUSED_PAD src0_sel:WORD_0 src1_sel:DWORD
	v_lshlrev_b32_sdwa v14, v46, v62 dst_sel:DWORD dst_unused:UNUSED_PAD src0_sel:DWORD src1_sel:WORD_0
	s_clause 0x1
	global_load_dwordx2 v[6:7], v93, s[8:9] offset:80
	global_load_dwordx2 v[12:13], v100, s[8:9] offset:80
	v_lshrrev_b32_e32 v70, 20, v4
	v_mul_lo_u16 v4, v68, 30
	v_lshrrev_b32_e32 v66, 20, v5
	v_lshlrev_b32_sdwa v5, v46, v63 dst_sel:DWORD dst_unused:UNUSED_PAD src0_sel:DWORD src1_sel:WORD_0
	global_load_dwordx2 v[14:15], v14, s[8:9] offset:80
	v_mov_b32_e32 v76, 0x168
	v_sub_nc_u16 v69, v50, v4
	v_mul_lo_u16 v4, v70, 30
	global_load_dwordx2 v[16:17], v5, s[8:9] offset:80
	v_mul_lo_u16 v18, v66, 30
	v_mul_lo_u16 v86, 0xb7, v26
	v_mul_u32_u24_sdwa v26, v58, v76 dst_sel:DWORD dst_unused:UNUSED_PAD src0_sel:WORD_0 src1_sel:DWORD
	v_sub_nc_u16 v71, v49, v4
	v_mul_u32_u24_e32 v58, 0x168, v59
	v_sub_nc_u16 v67, v44, v18
	v_mul_u32_u24_e32 v59, 0x168, v60
	v_mul_u32_u24_e32 v60, 0x168, v61
	v_lshlrev_b32_sdwa v4, v46, v71 dst_sel:DWORD dst_unused:UNUSED_PAD src0_sel:DWORD src1_sel:WORD_0
	v_mul_u32_u24_e32 v61, 0x168, v64
	v_mul_u32_u24_e32 v64, 0x168, v66
	;; [unrolled: 1-line block ×4, first 2 shown]
	global_load_dwordx2 v[18:19], v4, s[8:9] offset:80
	v_lshlrev_b32_sdwa v5, v46, v65 dst_sel:DWORD dst_unused:UNUSED_PAD src0_sel:DWORD src1_sel:WORD_0
	v_mul_u32_u24_sdwa v70, v53, v76 dst_sel:DWORD dst_unused:UNUSED_PAD src0_sel:WORD_0 src1_sel:DWORD
	v_lshlrev_b32_sdwa v53, v51, v54 dst_sel:DWORD dst_unused:UNUSED_PAD src0_sel:DWORD src1_sel:BYTE_0
	v_mul_u32_u24_sdwa v27, v27, v76 dst_sel:DWORD dst_unused:UNUSED_PAD src0_sel:WORD_0 src1_sel:DWORD
	v_lshlrev_b32_sdwa v54, v51, v56 dst_sel:DWORD dst_unused:UNUSED_PAD src0_sel:DWORD src1_sel:WORD_0
	global_load_dwordx2 v[20:21], v5, s[8:9] offset:80
	v_lshlrev_b32_sdwa v5, v46, v67 dst_sel:DWORD dst_unused:UNUSED_PAD src0_sel:DWORD src1_sel:WORD_0
	v_lshlrev_b32_sdwa v56, v51, v62 dst_sel:DWORD dst_unused:UNUSED_PAD src0_sel:DWORD src1_sel:WORD_0
	v_lshlrev_b32_sdwa v62, v51, v63 dst_sel:DWORD dst_unused:UNUSED_PAD src0_sel:DWORD src1_sel:WORD_0
	v_lshlrev_b32_sdwa v63, v51, v65 dst_sel:DWORD dst_unused:UNUSED_PAD src0_sel:DWORD src1_sel:WORD_0
	v_lshlrev_b32_sdwa v65, v51, v67 dst_sel:DWORD dst_unused:UNUSED_PAD src0_sel:DWORD src1_sel:WORD_0
	global_load_dwordx2 v[22:23], v5, s[8:9] offset:80
	v_lshlrev_b32_sdwa v5, v46, v69 dst_sel:DWORD dst_unused:UNUSED_PAD src0_sel:DWORD src1_sel:WORD_0
	v_lshlrev_b32_sdwa v67, v51, v69 dst_sel:DWORD dst_unused:UNUSED_PAD src0_sel:DWORD src1_sel:WORD_0
	;; [unrolled: 1-line block ×3, first 2 shown]
	v_add3_u32 v71, 0, v26, v53
	v_lshlrev_b32_sdwa v26, v51, v55 dst_sel:DWORD dst_unused:UNUSED_PAD src0_sel:DWORD src1_sel:BYTE_0
	global_load_dwordx2 v[24:25], v5, s[8:9] offset:80
	v_add3_u32 v87, 0, v58, v54
	v_lshlrev_b32_sdwa v55, v51, v57 dst_sel:DWORD dst_unused:UNUSED_PAD src0_sel:DWORD src1_sel:BYTE_0
	v_add3_u32 v88, 0, v59, v56
	v_add3_u32 v94, 0, v27, v26
	ds_read2_b32 v[26:27], v40 offset0:42 offset1:123
	ds_read2_b32 v[53:54], v34 offset0:84 offset1:165
	v_add3_u32 v89, 0, v60, v62
	v_add3_u32 v90, 0, v61, v63
	;; [unrolled: 1-line block ×6, first 2 shown]
	ds_read2_b32 v[55:56], v30 offset0:76 offset1:157
	ds_read2_b32 v[57:58], v38 offset0:118 offset1:199
	ds_read_u16 v96, v28 offset:3566
	ds_read2_b32 v[59:60], v33 offset0:110 offset1:191
	ds_read2_b32 v[61:62], v31 offset0:152 offset1:233
	;; [unrolled: 1-line block ×6, first 2 shown]
	ds_read2_b32 v[76:77], v28 offset1:81
	ds_read2_b32 v[78:79], v28 offset0:162 offset1:243
	ds_read2_b32 v[80:81], v37 offset0:68 offset1:149
	;; [unrolled: 1-line block ×4, first 2 shown]
	v_mov_b32_e32 v72, 0x2d83
	s_waitcnt vmcnt(0) lgkmcnt(0)
	s_barrier
	buffer_gl0_inv
	v_lshlrev_b32_e32 v4, 1, v0
	v_mov_b32_e32 v5, 0
	v_lshrrev_b32_e32 v100, 16, v55
	v_lshrrev_b32_e32 v101, 16, v57
	;; [unrolled: 1-line block ×29, first 2 shown]
	v_lshlrev_b64 v[73:74], 2, v[4:5]
	v_add_nc_u32_e32 v52, -9, v0
	v_cndmask_b32_e64 v52, v52, v48, s0
	v_lshlrev_b32_e32 v75, 1, v52
	v_lshlrev_b32_e32 v52, 2, v52
	v_mul_f16_sdwa v134, v55, v10 dst_sel:DWORD dst_unused:UNUSED_PAD src0_sel:DWORD src1_sel:WORD_1
	v_mul_f16_sdwa v135, v57, v11 dst_sel:DWORD dst_unused:UNUSED_PAD src0_sel:DWORD src1_sel:WORD_1
	;; [unrolled: 1-line block ×6, first 2 shown]
	v_fmac_f16_e32 v134, v100, v10
	v_mul_f16_sdwa v126, v6, v26 dst_sel:DWORD dst_unused:UNUSED_PAD src0_sel:WORD_1 src1_sel:DWORD
	v_mul_f16_sdwa v127, v7, v53 dst_sel:DWORD dst_unused:UNUSED_PAD src0_sel:WORD_1 src1_sel:DWORD
	;; [unrolled: 1-line block ×4, first 2 shown]
	v_mul_f16_sdwa v130, v96, v12 dst_sel:DWORD dst_unused:UNUSED_PAD src0_sel:DWORD src1_sel:WORD_1
	v_mul_f16_sdwa v131, v99, v13 dst_sel:DWORD dst_unused:UNUSED_PAD src0_sel:DWORD src1_sel:WORD_1
	v_mul_f16_sdwa v132, v12, v27 dst_sel:DWORD dst_unused:UNUSED_PAD src0_sel:WORD_1 src1_sel:DWORD
	v_mul_f16_sdwa v133, v54, v13 dst_sel:DWORD dst_unused:UNUSED_PAD src0_sel:DWORD src1_sel:WORD_1
	v_fmac_f16_e32 v126, v6, v97
	v_mul_f16_sdwa v97, v56, v8 dst_sel:DWORD dst_unused:UNUSED_PAD src0_sel:DWORD src1_sel:WORD_1
	v_fmac_f16_e32 v127, v7, v98
	v_mul_f16_sdwa v98, v58, v9 dst_sel:DWORD dst_unused:UNUSED_PAD src0_sel:DWORD src1_sel:WORD_1
	v_fma_f16 v6, v6, v26, -v128
	v_fma_f16 v7, v7, v53, -v129
	v_mul_f16_sdwa v26, v59, v14 dst_sel:DWORD dst_unused:UNUSED_PAD src0_sel:DWORD src1_sel:WORD_1
	v_mul_f16_sdwa v53, v61, v15 dst_sel:DWORD dst_unused:UNUSED_PAD src0_sel:DWORD src1_sel:WORD_1
	v_fma_f16 v27, v12, v27, -v130
	v_mul_f16_sdwa v128, v104, v14 dst_sel:DWORD dst_unused:UNUSED_PAD src0_sel:DWORD src1_sel:WORD_1
	v_mul_f16_sdwa v129, v105, v15 dst_sel:DWORD dst_unused:UNUSED_PAD src0_sel:DWORD src1_sel:WORD_1
	;; [unrolled: 3-line block ×3, first 2 shown]
	v_fmac_f16_e32 v132, v96, v12
	v_mul_f16_sdwa v12, v60, v16 dst_sel:DWORD dst_unused:UNUSED_PAD src0_sel:DWORD src1_sel:WORD_1
	v_fmac_f16_e32 v133, v99, v13
	v_mul_f16_sdwa v13, v62, v17 dst_sel:DWORD dst_unused:UNUSED_PAD src0_sel:DWORD src1_sel:WORD_1
	v_fmac_f16_e32 v135, v101, v11
	v_fma_f16 v10, v55, v10, -v136
	v_fma_f16 v11, v57, v11, -v137
	;; [unrolled: 1-line block ×3, first 2 shown]
	v_mul_f16_sdwa v96, v63, v20 dst_sel:DWORD dst_unused:UNUSED_PAD src0_sel:DWORD src1_sel:WORD_1
	v_mul_f16_sdwa v99, v65, v21 dst_sel:DWORD dst_unused:UNUSED_PAD src0_sel:DWORD src1_sel:WORD_1
	;; [unrolled: 1-line block ×4, first 2 shown]
	v_fma_f16 v58, v58, v9, -v139
	v_fmac_f16_e32 v97, v102, v8
	v_mul_f16_sdwa v55, v110, v22 dst_sel:DWORD dst_unused:UNUSED_PAD src0_sel:DWORD src1_sel:WORD_1
	v_mul_f16_sdwa v57, v64, v22 dst_sel:DWORD dst_unused:UNUSED_PAD src0_sel:DWORD src1_sel:WORD_1
	v_mul_f16_sdwa v136, v111, v23 dst_sel:DWORD dst_unused:UNUSED_PAD src0_sel:DWORD src1_sel:WORD_1
	v_mul_f16_sdwa v137, v66, v23 dst_sel:DWORD dst_unused:UNUSED_PAD src0_sel:DWORD src1_sel:WORD_1
	v_fmac_f16_e32 v98, v103, v9
	v_mul_f16_sdwa v102, v114, v18 dst_sel:DWORD dst_unused:UNUSED_PAD src0_sel:DWORD src1_sel:WORD_1
	v_mul_f16_sdwa v138, v67, v24 dst_sel:DWORD dst_unused:UNUSED_PAD src0_sel:DWORD src1_sel:WORD_1
	v_mul_f16_sdwa v139, v112, v24 dst_sel:DWORD dst_unused:UNUSED_PAD src0_sel:DWORD src1_sel:WORD_1
	v_mul_f16_sdwa v8, v69, v25 dst_sel:DWORD dst_unused:UNUSED_PAD src0_sel:DWORD src1_sel:WORD_1
	v_mul_f16_sdwa v9, v113, v25 dst_sel:DWORD dst_unused:UNUSED_PAD src0_sel:DWORD src1_sel:WORD_1
	v_mul_f16_sdwa v103, v68, v18 dst_sel:DWORD dst_unused:UNUSED_PAD src0_sel:DWORD src1_sel:WORD_1
	v_fmac_f16_e32 v26, v104, v14
	v_mul_f16_sdwa v104, v115, v19 dst_sel:DWORD dst_unused:UNUSED_PAD src0_sel:DWORD src1_sel:WORD_1
	v_fmac_f16_e32 v53, v105, v15
	v_mul_f16_sdwa v105, v70, v19 dst_sel:DWORD dst_unused:UNUSED_PAD src0_sel:DWORD src1_sel:WORD_1
	v_fma_f16 v14, v59, v14, -v128
	v_fma_f16 v15, v61, v15, -v129
	;; [unrolled: 1-line block ×4, first 2 shown]
	v_fmac_f16_e32 v12, v106, v16
	v_fmac_f16_e32 v13, v107, v17
	;; [unrolled: 1-line block ×4, first 2 shown]
	v_fma_f16 v16, v63, v20, -v100
	v_fma_f16 v17, v65, v21, -v101
	;; [unrolled: 1-line block ×4, first 2 shown]
	v_fmac_f16_e32 v57, v110, v22
	v_fmac_f16_e32 v137, v111, v23
	;; [unrolled: 1-line block ×4, first 2 shown]
	v_fma_f16 v22, v67, v24, -v139
	v_fma_f16 v9, v69, v25, -v9
	;; [unrolled: 1-line block ×4, first 2 shown]
	v_fmac_f16_e32 v103, v114, v18
	v_fmac_f16_e32 v105, v115, v19
	v_add_f16_e32 v18, v27, v54
	v_add_f16_e32 v19, v77, v27
	;; [unrolled: 1-line block ×11, first 2 shown]
	v_sub_f16_e32 v61, v132, v133
	v_sub_f16_e32 v27, v27, v54
	;; [unrolled: 1-line block ×4, first 2 shown]
	v_add_f16_e32 v67, v56, v58
	v_add_f16_e32 v68, v79, v56
	;; [unrolled: 1-line block ×16, first 2 shown]
	v_fmac_f16_e32 v77, -0.5, v18
	v_add_f16_e32 v18, v22, v9
	v_fmac_f16_e32 v116, -0.5, v25
	v_add_f16_e32 v25, v84, v22
	v_add_f16_e32 v7, v63, v7
	;; [unrolled: 1-line block ×4, first 2 shown]
	v_fmac_f16_e32 v117, -0.5, v65
	v_add_f16_e32 v65, v125, v138
	v_add_f16_e32 v19, v19, v54
	;; [unrolled: 1-line block ×3, first 2 shown]
	v_fma_f16 v62, -0.5, v62, v76
	v_sub_f16_e32 v106, v134, v135
	v_add_f16_e32 v131, v80, v14
	v_add_f16_e32 v134, v121, v26
	v_sub_f16_e32 v56, v56, v58
	v_sub_f16_e32 v10, v10, v11
	v_add_f16_e32 v55, v55, v133
	v_fmac_f16_e32 v118, -0.5, v69
	v_fmac_f16_e32 v119, -0.5, v104
	v_fma_f16 v69, -0.5, v100, v78
	v_sub_f16_e32 v97, v97, v98
	v_add_f16_e32 v108, v81, v59
	v_add_f16_e32 v110, v120, v12
	v_sub_f16_e32 v12, v12, v13
	v_sub_f16_e32 v59, v59, v60
	v_add_f16_e32 v113, v83, v20
	v_add_f16_e32 v115, v122, v57
	v_sub_f16_e32 v57, v57, v137
	v_sub_f16_e32 v20, v20, v21
	;; [unrolled: 1-line block ×4, first 2 shown]
	v_add_f16_e32 v139, v82, v16
	v_sub_f16_e32 v103, v103, v105
	v_sub_f16_e32 v23, v23, v24
	;; [unrolled: 1-line block ×3, first 2 shown]
	v_add_f16_e32 v63, v123, v96
	v_sub_f16_e32 v96, v96, v99
	v_sub_f16_e32 v22, v22, v9
	;; [unrolled: 1-line block ×3, first 2 shown]
	v_fmac_f16_e32 v79, -0.5, v67
	v_add_f16_e32 v11, v101, v11
	v_add_f16_e32 v67, v102, v135
	v_fmac_f16_e32 v81, -0.5, v107
	v_fmac_f16_e32 v120, -0.5, v109
	;; [unrolled: 1-line block ×6, first 2 shown]
	v_add_f16_e32 v58, v68, v58
	v_add_f16_e32 v68, v70, v98
	v_fmac_f16_e32 v121, -0.5, v136
	v_fmac_f16_e32 v123, -0.5, v127
	v_fma_f16 v70, -0.5, v111, v80
	v_fma_f16 v76, -0.5, v132, v82
	;; [unrolled: 1-line block ×3, first 2 shown]
	v_add_f16_e32 v9, v25, v9
	v_add_f16_e32 v8, v65, v8
	v_fmac_f16_e32 v125, -0.5, v54
	v_add_f16_e32 v24, v129, v24
	v_add_f16_e32 v25, v130, v105
	v_fmamk_f16 v54, v61, 0x3aee, v77
	v_fmac_f16_e32 v77, 0xbaee, v61
	v_fmamk_f16 v61, v27, 0xbaee, v116
	v_fmac_f16_e32 v116, 0x3aee, v27
	v_pack_b32_f16 v7, v7, v64
	v_fmamk_f16 v27, v66, 0x3aee, v62
	v_fmamk_f16 v64, v6, 0xbaee, v117
	v_fmac_f16_e32 v62, 0xbaee, v66
	v_fmac_f16_e32 v117, 0x3aee, v6
	v_add_f16_e32 v15, v131, v15
	v_add_f16_e32 v53, v134, v53
	v_pack_b32_f16 v6, v19, v55
	v_fmamk_f16 v55, v56, 0xbaee, v118
	v_fmac_f16_e32 v118, 0x3aee, v56
	v_fmamk_f16 v56, v106, 0x3aee, v69
	v_fmamk_f16 v65, v10, 0xbaee, v119
	v_add_f16_e32 v60, v108, v60
	v_add_f16_e32 v13, v110, v13
	;; [unrolled: 1-line block ×6, first 2 shown]
	v_fmamk_f16 v19, v97, 0x3aee, v79
	v_fmac_f16_e32 v79, 0xbaee, v97
	v_pack_b32_f16 v11, v11, v67
	v_fmamk_f16 v66, v12, 0x3aee, v81
	v_fmac_f16_e32 v81, 0xbaee, v12
	v_fmamk_f16 v12, v59, 0xbaee, v120
	v_fmac_f16_e32 v120, 0x3aee, v59
	;; [unrolled: 2-line block ×6, first 2 shown]
	v_fmac_f16_e32 v69, 0xbaee, v106
	v_fmac_f16_e32 v119, 0x3aee, v10
	v_fmamk_f16 v10, v26, 0x3aee, v70
	v_fmac_f16_e32 v70, 0xbaee, v26
	v_fmamk_f16 v23, v14, 0xbaee, v121
	;; [unrolled: 2-line block ×6, first 2 shown]
	v_fmac_f16_e32 v125, 0x3aee, v22
	v_pack_b32_f16 v8, v9, v8
	v_pack_b32_f16 v9, v24, v25
	v_pack_b32_f16 v25, v27, v64
	v_pack_b32_f16 v27, v62, v117
	v_pack_b32_f16 v15, v15, v53
	v_pack_b32_f16 v53, v54, v61
	v_pack_b32_f16 v24, v77, v116
	v_pack_b32_f16 v56, v56, v65
	v_pack_b32_f16 v22, v58, v68
	v_pack_b32_f16 v13, v60, v13
	v_pack_b32_f16 v17, v17, v63
	v_pack_b32_f16 v21, v21, v78
	v_pack_b32_f16 v54, v79, v118
	v_pack_b32_f16 v58, v81, v120
	v_pack_b32_f16 v60, v83, v122
	v_pack_b32_f16 v61, v85, v124
	v_pack_b32_f16 v62, v69, v119
	v_pack_b32_f16 v19, v19, v55
	v_pack_b32_f16 v10, v10, v23
	v_pack_b32_f16 v23, v70, v121
	v_pack_b32_f16 v12, v66, v12
	v_pack_b32_f16 v14, v14, v26
	v_pack_b32_f16 v26, v76, v123
	v_pack_b32_f16 v55, v59, v57
	v_pack_b32_f16 v16, v16, v80
	v_pack_b32_f16 v18, v18, v125
	v_pack_b32_f16 v20, v20, v67
	ds_write2_b32 v71, v7, v25 offset1:30
	ds_write_b32 v71, v27 offset:240
	ds_write2_b32 v94, v6, v53 offset1:30
	ds_write_b32 v94, v24 offset:240
	ds_write2_b32 v95, v11, v56 offset1:30
	ds_write_b32 v95, v62 offset:240
	ds_write2_b32 v87, v22, v19 offset1:30
	ds_write_b32 v87, v54 offset:240
	ds_write2_b32 v88, v15, v10 offset1:30
	ds_write_b32 v88, v23 offset:240
	ds_write2_b32 v89, v13, v12 offset1:30
	ds_write_b32 v89, v58 offset:240
	ds_write2_b32 v90, v17, v14 offset1:30
	ds_write_b32 v90, v26 offset:240
	ds_write2_b32 v91, v21, v55 offset1:30
	ds_write_b32 v91, v60 offset:240
	ds_write2_b32 v92, v8, v16 offset1:30
	ds_write_b32 v92, v18 offset:240
	ds_write2_b32 v93, v9, v20 offset1:30
	ds_write_b32 v93, v61 offset:240
	v_mul_u32_u24_sdwa v11, v43, v72 dst_sel:DWORD dst_unused:UNUSED_PAD src0_sel:WORD_0 src1_sel:DWORD
	v_lshrrev_b16 v60, 14, v86
	v_mul_u32_u24_sdwa v6, v41, v72 dst_sel:DWORD dst_unused:UNUSED_PAD src0_sel:WORD_0 src1_sel:DWORD
	v_mul_u32_u24_sdwa v12, v42, v72 dst_sel:DWORD dst_unused:UNUSED_PAD src0_sel:WORD_0 src1_sel:DWORD
	;; [unrolled: 1-line block ×3, first 2 shown]
	v_lshrrev_b32_e32 v64, 20, v11
	v_mul_lo_u16 v10, 0x5a, v60
	v_lshrrev_b32_e32 v62, 20, v6
	v_lshrrev_b32_e32 v65, 20, v12
	v_add_co_u32 v6, s0, s8, v73
	v_mul_lo_u16 v16, 0x5a, v64
	v_sub_nc_u16 v61, v47, v10
	v_add_co_ci_u32_e64 v7, s0, s9, v74, s0
	v_mul_lo_u16 v10, 0x5a, v62
	v_sub_nc_u16 v66, v43, v16
	v_lshlrev_b32_sdwa v13, v46, v61 dst_sel:DWORD dst_unused:UNUSED_PAD src0_sel:DWORD src1_sel:BYTE_0
	v_mul_lo_u16 v16, 0x5a, v65
	v_lshrrev_b32_e32 v53, 20, v17
	v_mul_u32_u24_sdwa v17, v44, v72 dst_sel:DWORD dst_unused:UNUSED_PAD src0_sel:WORD_0 src1_sel:DWORD
	v_lshlrev_b32_sdwa v18, v46, v66 dst_sel:DWORD dst_unused:UNUSED_PAD src0_sel:DWORD src1_sel:WORD_0
	v_mul_u32_u24_sdwa v20, v49, v72 dst_sel:DWORD dst_unused:UNUSED_PAD src0_sel:WORD_0 src1_sel:DWORD
	s_waitcnt lgkmcnt(0)
	s_barrier
	buffer_gl0_inv
	v_sub_nc_u16 v63, v41, v10
	s_clause 0x1
	global_load_dwordx2 v[10:11], v[6:7], off offset:320
	global_load_dwordx2 v[12:13], v13, s[8:9] offset:320
	v_sub_nc_u16 v67, v42, v16
	v_mul_lo_u16 v19, 0x5a, v53
	v_lshrrev_b32_e32 v55, 20, v17
	global_load_dwordx2 v[16:17], v18, s[8:9] offset:320
	v_mul_u32_u24_sdwa v18, v50, v72 dst_sel:DWORD dst_unused:UNUSED_PAD src0_sel:WORD_0 src1_sel:DWORD
	v_lshrrev_b32_e32 v20, 20, v20
	v_lshlrev_b32_sdwa v21, v46, v67 dst_sel:DWORD dst_unused:UNUSED_PAD src0_sel:DWORD src1_sel:WORD_0
	v_sub_nc_u16 v59, v45, v19
	v_mul_lo_u16 v22, 0x5a, v55
	v_lshrrev_b32_e32 v54, 20, v18
	v_mul_lo_u16 v20, 0x5a, v20
	v_mov_b32_e32 v76, v5
	global_load_dwordx2 v[18:19], v21, s[8:9] offset:320
	v_lshlrev_b32_sdwa v21, v46, v59 dst_sel:DWORD dst_unused:UNUSED_PAD src0_sel:DWORD src1_sel:WORD_0
	v_sub_nc_u16 v58, v44, v22
	v_mul_lo_u16 v24, 0x5a, v54
	v_sub_nc_u16 v20, v49, v20
	v_lshlrev_b64 v[8:9], 2, v[75:76]
	global_load_dwordx2 v[22:23], v21, s[8:9] offset:320
	v_lshlrev_b32_sdwa v21, v46, v58 dst_sel:DWORD dst_unused:UNUSED_PAD src0_sel:DWORD src1_sel:WORD_0
	v_sub_nc_u16 v57, v50, v24
	v_and_b32_e32 v56, 0xffff, v20
	v_mov_b32_e32 v69, 0x438
	v_add_co_u32 v8, s0, s8, v8
	v_add_co_ci_u32_e64 v9, s0, s9, v9, s0
	global_load_dwordx2 v[24:25], v21, s[8:9] offset:320
	v_lshlrev_b32_sdwa v21, v46, v57 dst_sel:DWORD dst_unused:UNUSED_PAD src0_sel:DWORD src1_sel:WORD_0
	v_lshlrev_b32_e32 v20, 3, v56
	global_load_dwordx2 v[14:15], v[8:9], off offset:320
	v_cmp_lt_u32_e64 s0, 8, v0
	v_mul_u32_u24_e32 v62, 0x438, v62
	s_clause 0x1
	global_load_dwordx2 v[26:27], v21, s[8:9] offset:320
	global_load_dwordx2 v[20:21], v20, s[8:9] offset:320
	v_lshlrev_b32_sdwa v8, v46, v63 dst_sel:DWORD dst_unused:UNUSED_PAD src0_sel:DWORD src1_sel:WORD_0
	v_cndmask_b32_e64 v68, 0, 0x438, s0
	v_lshlrev_b32_sdwa v63, v51, v63 dst_sel:DWORD dst_unused:UNUSED_PAD src0_sel:DWORD src1_sel:WORD_0
	v_mul_u32_u24_e32 v64, 0x438, v64
	v_mul_u32_u24_e32 v65, 0x438, v65
	global_load_dwordx2 v[8:9], v8, s[8:9] offset:320
	v_add3_u32 v52, 0, v68, v52
	v_mul_u32_u24_sdwa v68, v60, v69 dst_sel:DWORD dst_unused:UNUSED_PAD src0_sel:WORD_0 src1_sel:DWORD
	v_lshlrev_b32_sdwa v69, v51, v61 dst_sel:DWORD dst_unused:UNUSED_PAD src0_sel:DWORD src1_sel:BYTE_0
	v_add3_u32 v90, 0, v62, v63
	ds_read2_b32 v[60:61], v40 offset0:42 offset1:123
	ds_read2_b32 v[62:63], v34 offset0:84 offset1:165
	v_lshlrev_b32_sdwa v66, v51, v66 dst_sel:DWORD dst_unused:UNUSED_PAD src0_sel:DWORD src1_sel:WORD_0
	v_lshlrev_b32_sdwa v67, v51, v67 dst_sel:DWORD dst_unused:UNUSED_PAD src0_sel:DWORD src1_sel:WORD_0
	v_add3_u32 v93, 0, v68, v69
	v_cmp_gt_u32_e64 s0, 27, v0
	v_add3_u32 v91, 0, v64, v66
	v_add3_u32 v92, 0, v65, v67
	ds_read2_b32 v[64:65], v30 offset0:76 offset1:157
	ds_read2_b32 v[66:67], v38 offset0:118 offset1:199
	ds_read_u16 v94, v28 offset:3566
	ds_read2_b32 v[68:69], v33 offset0:110 offset1:191
	ds_read2_b32 v[70:71], v31 offset0:152 offset1:233
	;; [unrolled: 1-line block ×6, first 2 shown]
	ds_read2_b32 v[80:81], v28 offset1:81
	ds_read2_b32 v[82:83], v28 offset0:162 offset1:243
	ds_read2_b32 v[84:85], v37 offset0:68 offset1:149
	;; [unrolled: 1-line block ×4, first 2 shown]
	s_waitcnt vmcnt(0) lgkmcnt(0)
	s_barrier
	buffer_gl0_inv
	v_lshrrev_b32_e32 v98, 16, v64
	v_lshrrev_b32_e32 v99, 16, v66
	;; [unrolled: 1-line block ×28, first 2 shown]
	v_mul_f16_sdwa v123, v10, v60 dst_sel:DWORD dst_unused:UNUSED_PAD src0_sel:WORD_1 src1_sel:DWORD
	v_mul_f16_sdwa v124, v11, v62 dst_sel:DWORD dst_unused:UNUSED_PAD src0_sel:WORD_1 src1_sel:DWORD
	;; [unrolled: 1-line block ×4, first 2 shown]
	v_mul_f16_sdwa v131, v64, v12 dst_sel:DWORD dst_unused:UNUSED_PAD src0_sel:DWORD src1_sel:WORD_1
	v_mul_f16_sdwa v132, v66, v13 dst_sel:DWORD dst_unused:UNUSED_PAD src0_sel:DWORD src1_sel:WORD_1
	;; [unrolled: 1-line block ×6, first 2 shown]
	v_fmac_f16_e32 v123, v10, v95
	v_mul_f16_sdwa v95, v102, v16 dst_sel:DWORD dst_unused:UNUSED_PAD src0_sel:DWORD src1_sel:WORD_1
	v_fmac_f16_e32 v124, v11, v96
	v_mul_f16_sdwa v96, v103, v17 dst_sel:DWORD dst_unused:UNUSED_PAD src0_sel:DWORD src1_sel:WORD_1
	v_fma_f16 v10, v10, v60, -v125
	v_fma_f16 v11, v11, v62, -v126
	v_mul_f16_sdwa v60, v104, v18 dst_sel:DWORD dst_unused:UNUSED_PAD src0_sel:DWORD src1_sel:WORD_1
	v_mul_f16_sdwa v62, v105, v19 dst_sel:DWORD dst_unused:UNUSED_PAD src0_sel:DWORD src1_sel:WORD_1
	;; [unrolled: 1-line block ×4, first 2 shown]
	v_fmac_f16_e32 v131, v98, v12
	v_fmac_f16_e32 v132, v99, v13
	v_fma_f16 v12, v64, v12, -v133
	v_fma_f16 v13, v66, v13, -v134
	v_fmac_f16_e32 v139, v102, v16
	v_fmac_f16_e32 v140, v103, v17
	v_fma_f16 v16, v68, v16, -v95
	v_fma_f16 v17, v70, v17, -v96
	;; [unrolled: 1-line block ×3, first 2 shown]
	v_mul_f16_sdwa v98, v109, v25 dst_sel:DWORD dst_unused:UNUSED_PAD src0_sel:DWORD src1_sel:WORD_1
	v_mul_f16_sdwa v99, v75, v25 dst_sel:DWORD dst_unused:UNUSED_PAD src0_sel:DWORD src1_sel:WORD_1
	v_fma_f16 v62, v71, v19, -v62
	v_mul_f16_sdwa v127, v94, v14 dst_sel:DWORD dst_unused:UNUSED_PAD src0_sel:DWORD src1_sel:WORD_1
	v_mul_f16_sdwa v128, v97, v15 dst_sel:DWORD dst_unused:UNUSED_PAD src0_sel:DWORD src1_sel:WORD_1
	v_mul_f16_sdwa v129, v14, v61 dst_sel:DWORD dst_unused:UNUSED_PAD src0_sel:WORD_1 src1_sel:DWORD
	v_mul_f16_sdwa v130, v63, v15 dst_sel:DWORD dst_unused:UNUSED_PAD src0_sel:DWORD src1_sel:WORD_1
	v_mul_f16_sdwa v64, v76, v26 dst_sel:DWORD dst_unused:UNUSED_PAD src0_sel:DWORD src1_sel:WORD_1
	v_fma_f16 v61, v14, v61, -v127
	v_fma_f16 v63, v63, v15, -v128
	v_mul_f16_sdwa v127, v72, v22 dst_sel:DWORD dst_unused:UNUSED_PAD src0_sel:DWORD src1_sel:WORD_1
	v_mul_f16_sdwa v128, v106, v22 dst_sel:DWORD dst_unused:UNUSED_PAD src0_sel:DWORD src1_sel:WORD_1
	v_fmac_f16_e32 v129, v94, v14
	v_mul_f16_sdwa v135, v100, v8 dst_sel:DWORD dst_unused:UNUSED_PAD src0_sel:DWORD src1_sel:WORD_1
	v_mul_f16_sdwa v136, v101, v9 dst_sel:DWORD dst_unused:UNUSED_PAD src0_sel:DWORD src1_sel:WORD_1
	;; [unrolled: 1-line block ×5, first 2 shown]
	v_fmac_f16_e32 v130, v97, v15
	v_mul_f16_sdwa v15, v107, v23 dst_sel:DWORD dst_unused:UNUSED_PAD src0_sel:DWORD src1_sel:WORD_1
	v_mul_f16_sdwa v66, v110, v26 dst_sel:DWORD dst_unused:UNUSED_PAD src0_sel:DWORD src1_sel:WORD_1
	v_fma_f16 v65, v65, v8, -v135
	v_fma_f16 v67, v67, v9, -v136
	v_mul_f16_sdwa v135, v112, v20 dst_sel:DWORD dst_unused:UNUSED_PAD src0_sel:DWORD src1_sel:WORD_1
	v_mul_f16_sdwa v136, v77, v20 dst_sel:DWORD dst_unused:UNUSED_PAD src0_sel:DWORD src1_sel:WORD_1
	;; [unrolled: 1-line block ×6, first 2 shown]
	v_fmac_f16_e32 v137, v100, v8
	v_mul_f16_sdwa v8, v113, v21 dst_sel:DWORD dst_unused:UNUSED_PAD src0_sel:DWORD src1_sel:WORD_1
	v_fmac_f16_e32 v138, v101, v9
	v_mul_f16_sdwa v9, v79, v21 dst_sel:DWORD dst_unused:UNUSED_PAD src0_sel:DWORD src1_sel:WORD_1
	v_fmac_f16_e32 v125, v104, v18
	v_fmac_f16_e32 v126, v105, v19
	;; [unrolled: 1-line block ×4, first 2 shown]
	v_fma_f16 v18, v72, v22, -v128
	v_fma_f16 v15, v74, v23, -v15
	;; [unrolled: 1-line block ×3, first 2 shown]
	v_fmac_f16_e32 v99, v109, v25
	v_fmac_f16_e32 v64, v110, v26
	v_fma_f16 v23, v76, v26, -v66
	v_fma_f16 v25, v77, v20, -v135
	v_fmac_f16_e32 v136, v112, v20
	v_add_f16_e32 v20, v61, v63
	v_add_f16_e32 v26, v129, v130
	;; [unrolled: 1-line block ×6, first 2 shown]
	v_fmac_f16_e32 v97, v108, v24
	v_fma_f16 v19, v73, v24, -v94
	v_fmac_f16_e32 v133, v111, v27
	v_fma_f16 v24, v78, v27, -v134
	v_fma_f16 v8, v79, v21, -v8
	v_fmac_f16_e32 v9, v113, v21
	v_add_f16_e32 v21, v81, v61
	v_add_f16_e32 v27, v114, v129
	;; [unrolled: 1-line block ×7, first 2 shown]
	v_sub_f16_e32 v66, v129, v130
	v_sub_f16_e32 v61, v61, v63
	;; [unrolled: 1-line block ×4, first 2 shown]
	v_add_f16_e32 v73, v65, v67
	v_add_f16_e32 v74, v83, v65
	;; [unrolled: 1-line block ×9, first 2 shown]
	v_fmac_f16_e32 v81, -0.5, v20
	v_fmac_f16_e32 v114, -0.5, v26
	v_add_f16_e32 v20, v70, v124
	v_add_f16_e32 v11, v69, v11
	v_fmac_f16_e32 v115, -0.5, v71
	v_fma_f16 v68, -0.5, v68, v80
	v_add_f16_e32 v100, v85, v60
	v_add_f16_e32 v102, v118, v125
	;; [unrolled: 1-line block ×3, first 2 shown]
	v_sub_f16_e32 v65, v65, v67
	v_sub_f16_e32 v12, v12, v13
	;; [unrolled: 1-line block ×3, first 2 shown]
	v_add_f16_e32 v21, v21, v63
	v_add_f16_e32 v26, v27, v130
	v_fmac_f16_e32 v116, -0.5, v75
	v_add_f16_e32 v13, v79, v13
	v_add_f16_e32 v27, v94, v132
	v_fmac_f16_e32 v117, -0.5, v95
	v_fma_f16 v70, -0.5, v78, v82
	v_sub_f16_e32 v77, v137, v138
	v_sub_f16_e32 v103, v125, v126
	;; [unrolled: 1-line block ×5, first 2 shown]
	v_fmac_f16_e32 v83, -0.5, v73
	v_add_f16_e32 v63, v74, v67
	v_add_f16_e32 v67, v76, v138
	v_fmac_f16_e32 v85, -0.5, v98
	v_fmac_f16_e32 v118, -0.5, v101
	v_add_f16_e32 v17, v105, v17
	v_add_f16_e32 v69, v106, v140
	v_fma_f16 v71, -0.5, v104, v84
	v_fmac_f16_e32 v119, -0.5, v107
	v_fmamk_f16 v76, v66, 0x3aee, v81
	v_fmac_f16_e32 v81, 0xbaee, v66
	v_fmamk_f16 v66, v61, 0xbaee, v114
	v_fmac_f16_e32 v114, 0x3aee, v61
	v_pack_b32_f16 v11, v11, v20
	v_fmamk_f16 v20, v72, 0x3aee, v68
	v_fmamk_f16 v61, v10, 0xbaee, v115
	v_fmac_f16_e32 v68, 0xbaee, v72
	v_fmac_f16_e32 v115, 0x3aee, v10
	v_add_f16_e32 v111, v120, v127
	v_add_f16_e32 v112, v127, v14
	v_sub_f16_e32 v113, v127, v14
	v_add_f16_e32 v123, v87, v19
	v_add_f16_e32 v125, v19, v22
	v_sub_f16_e32 v19, v19, v22
	v_add_f16_e32 v127, v121, v97
	v_add_f16_e32 v62, v100, v62
	;; [unrolled: 1-line block ×3, first 2 shown]
	v_fmac_f16_e32 v121, -0.5, v128
	v_pack_b32_f16 v10, v21, v26
	v_fmamk_f16 v26, v65, 0xbaee, v116
	v_fmac_f16_e32 v116, 0x3aee, v65
	v_pack_b32_f16 v13, v13, v27
	v_fmamk_f16 v27, v96, 0x3aee, v70
	v_fmamk_f16 v65, v12, 0xbaee, v117
	;; [unrolled: 1-line block ×3, first 2 shown]
	v_fmac_f16_e32 v83, 0xbaee, v77
	v_fmac_f16_e32 v70, 0xbaee, v96
	;; [unrolled: 1-line block ×3, first 2 shown]
	v_pack_b32_f16 v12, v63, v67
	v_fmamk_f16 v63, v103, 0x3aee, v85
	v_fmac_f16_e32 v85, 0xbaee, v103
	v_fmamk_f16 v67, v60, 0xbaee, v118
	v_fmac_f16_e32 v118, 0x3aee, v60
	v_pack_b32_f16 v17, v17, v69
	v_fmamk_f16 v60, v108, 0x3aee, v71
	v_fmamk_f16 v69, v16, 0xbaee, v119
	v_fmac_f16_e32 v71, 0xbaee, v108
	v_fmac_f16_e32 v119, 0x3aee, v16
	v_pack_b32_f16 v20, v20, v61
	v_pack_b32_f16 v61, v68, v115
	;; [unrolled: 1-line block ×4, first 2 shown]
	v_fmamk_f16 v73, v19, 0xbaee, v121
	v_fmac_f16_e32 v121, 0x3aee, v19
	v_pack_b32_f16 v19, v81, v114
	v_pack_b32_f16 v27, v27, v65
	v_add_f16_e32 v129, v23, v24
	v_pack_b32_f16 v68, v83, v116
	v_pack_b32_f16 v65, v70, v117
	;; [unrolled: 1-line block ×7, first 2 shown]
	ds_write2_b32 v28, v11, v20 offset1:90
	ds_write_b32 v28, v61 offset:720
	ds_write2_b32 v52, v10, v66 offset1:90
	ds_write_b32 v52, v19 offset:720
	;; [unrolled: 2-line block ×6, first 2 shown]
	v_add_f16_e32 v10, v64, v133
	v_fma_f16 v12, -0.5, v129, v88
	v_sub_f16_e32 v13, v64, v133
	v_add_f16_e32 v16, v122, v64
	v_add_f16_e32 v110, v18, v15
	v_fmac_f16_e32 v122, -0.5, v10
	v_sub_f16_e32 v10, v23, v24
	v_fmamk_f16 v17, v13, 0x3aee, v12
	v_fmac_f16_e32 v12, 0xbaee, v13
	v_add_f16_e32 v13, v16, v133
	v_add_f16_e32 v19, v25, v8
	v_fmamk_f16 v16, v10, 0xbaee, v122
	v_fmac_f16_e32 v122, 0x3aee, v10
	v_lshrrev_b32_e32 v10, 16, v89
	v_add_f16_e32 v20, v136, v9
	v_add_f16_e32 v21, v89, v25
	;; [unrolled: 1-line block ×3, first 2 shown]
	v_sub_f16_e32 v18, v18, v15
	v_fmac_f16_e32 v120, -0.5, v112
	v_fma_f16 v75, -0.5, v110, v86
	v_add_f16_e32 v11, v88, v23
	v_fmac_f16_e32 v89, -0.5, v19
	v_sub_f16_e32 v19, v136, v9
	v_add_f16_e32 v23, v10, v136
	v_fmac_f16_e32 v10, -0.5, v20
	v_add_f16_e32 v20, v21, v8
	v_sub_f16_e32 v8, v25, v8
	v_sub_f16_e32 v97, v97, v99
	v_fmac_f16_e32 v87, -0.5, v125
	v_add_f16_e32 v15, v109, v15
	v_add_f16_e32 v14, v111, v14
	v_fmamk_f16 v62, v113, 0x3aee, v75
	v_fmamk_f16 v72, v18, 0xbaee, v120
	v_add_f16_e32 v11, v11, v24
	v_fmamk_f16 v21, v19, 0x3aee, v89
	v_fmac_f16_e32 v89, 0xbaee, v19
	v_add_f16_e32 v9, v23, v9
	v_mul_u32_u24_e32 v19, 0x438, v53
	v_lshlrev_b32_sdwa v23, v51, v59 dst_sel:DWORD dst_unused:UNUSED_PAD src0_sel:DWORD src1_sel:WORD_0
	v_fmamk_f16 v24, v8, 0xbaee, v10
	v_fmac_f16_e32 v10, 0x3aee, v8
	v_mul_u32_u24_e32 v8, 0x438, v55
	v_lshlrev_b32_sdwa v25, v51, v58 dst_sel:DWORD dst_unused:UNUSED_PAD src0_sel:DWORD src1_sel:WORD_0
	v_fmac_f16_e32 v75, 0xbaee, v113
	v_fmac_f16_e32 v120, 0x3aee, v18
	v_add_f16_e32 v22, v123, v22
	v_add_f16_e32 v74, v127, v99
	v_fmamk_f16 v18, v97, 0x3aee, v87
	v_fmac_f16_e32 v87, 0xbaee, v97
	v_add3_u32 v19, 0, v19, v23
	v_pack_b32_f16 v14, v15, v14
	v_pack_b32_f16 v15, v62, v72
	v_add3_u32 v8, 0, v8, v25
	v_mul_u32_u24_e32 v25, 0x438, v54
	v_lshlrev_b32_sdwa v26, v51, v57 dst_sel:DWORD dst_unused:UNUSED_PAD src0_sel:DWORD src1_sel:WORD_0
	v_pack_b32_f16 v23, v75, v120
	v_pack_b32_f16 v11, v11, v13
	v_lshl_add_u32 v13, v56, 2, 0
	v_pack_b32_f16 v22, v22, v74
	v_pack_b32_f16 v18, v18, v73
	ds_write2_b32 v19, v14, v15 offset1:90
	ds_write_b32 v19, v23 offset:720
	ds_write2_b32 v8, v22, v18 offset1:90
	v_pack_b32_f16 v14, v87, v121
	v_add3_u32 v15, 0, v25, v26
	v_pack_b32_f16 v12, v12, v122
	v_pack_b32_f16 v16, v17, v16
	;; [unrolled: 1-line block ×4, first 2 shown]
	v_add_nc_u32_e32 v18, 0x2000, v13
	ds_write_b32 v8, v14 offset:720
	ds_write2_b32 v15, v11, v16 offset1:90
	ds_write_b32 v15, v12 offset:720
	ds_write2_b32 v18, v9, v17 offset0:112 offset1:202
	v_subrev_nc_u32_e32 v12, 27, v0
	v_pack_b32_f16 v10, v89, v10
	v_lshlrev_b32_e32 v8, 1, v48
	v_mov_b32_e32 v9, v5
	v_mov_b32_e32 v11, v5
	v_cndmask_b32_e64 v24, v12, v41, s0
	ds_write_b32 v13, v10 offset:9360
	v_lshlrev_b32_e32 v10, 1, v47
	v_lshlrev_b64 v[8:9], 2, v[8:9]
	v_mov_b32_e32 v13, v5
	v_lshlrev_b32_e32 v12, 1, v24
	v_mov_b32_e32 v27, 0x795d
	v_lshlrev_b64 v[10:11], 2, v[10:11]
	v_add_nc_u32_e32 v14, 0x6c, v4
	v_mov_b32_e32 v15, v5
	v_add_co_u32 v8, s0, s8, v8
	v_lshlrev_b64 v[12:13], 2, v[12:13]
	v_add_nc_u32_e32 v4, 0x10e, v4
	v_add_co_ci_u32_e64 v9, s0, s9, v9, s0
	v_mul_u32_u24_sdwa v16, v45, v27 dst_sel:DWORD dst_unused:UNUSED_PAD src0_sel:WORD_0 src1_sel:DWORD
	v_mul_u32_u24_sdwa v17, v44, v27 dst_sel:DWORD dst_unused:UNUSED_PAD src0_sel:WORD_0 src1_sel:DWORD
	v_add_co_u32 v10, s0, s8, v10
	v_lshlrev_b64 v[14:15], 2, v[14:15]
	v_add_co_ci_u32_e64 v11, s0, s9, v11, s0
	v_add_co_u32 v12, s0, s8, v12
	v_lshlrev_b64 v[22:23], 2, v[4:5]
	v_lshrrev_b32_e32 v4, 23, v16
	v_lshrrev_b32_e32 v25, 23, v17
	v_mul_u32_u24_sdwa v48, v50, v27 dst_sel:DWORD dst_unused:UNUSED_PAD src0_sel:WORD_0 src1_sel:DWORD
	v_add_co_ci_u32_e64 v13, s0, s9, v13, s0
	v_add_co_u32 v20, s0, s8, v14
	v_add_co_ci_u32_e64 v21, s0, s9, v15, s0
	v_mul_lo_u16 v47, 0x10e, v4
	v_mul_lo_u16 v52, 0x10e, v25
	v_add_co_u32 v25, s0, s8, v22
	v_lshrrev_b32_e32 v22, 23, v48
	v_mul_u32_u24_sdwa v27, v49, v27 dst_sel:DWORD dst_unused:UNUSED_PAD src0_sel:WORD_0 src1_sel:DWORD
	s_waitcnt lgkmcnt(0)
	s_barrier
	buffer_gl0_inv
	s_clause 0x3
	global_load_dwordx2 v[18:19], v[6:7], off offset:1040
	global_load_dwordx2 v[16:17], v[8:9], off offset:1040
	;; [unrolled: 1-line block ×4, first 2 shown]
	v_add_co_ci_u32_e64 v26, s0, s9, v23, s0
	v_sub_nc_u16 v23, v45, v47
	v_sub_nc_u16 v52, v44, v52
	global_load_dwordx2 v[47:48], v[20:21], off offset:1040
	v_mul_lo_u16 v20, 0x10e, v22
	v_lshrrev_b32_e32 v22, 23, v27
	v_lshlrev_b32_sdwa v27, v46, v23 dst_sel:DWORD dst_unused:UNUSED_PAD src0_sel:DWORD src1_sel:WORD_0
	v_and_b32_e32 v21, 0xffff, v52
	global_load_dwordx2 v[25:26], v[25:26], off offset:1040
	v_sub_nc_u16 v20, v50, v20
	v_mul_lo_u16 v46, 0x10e, v22
	global_load_dwordx2 v[52:53], v27, s[8:9] offset:1040
	v_lshlrev_b32_e32 v27, 3, v21
	v_cmp_lt_u32_e64 s0, 26, v0
	v_and_b32_e32 v22, 0xffff, v20
	v_sub_nc_u16 v20, v49, v46
	v_lshlrev_b32_e32 v24, 2, v24
	global_load_dwordx2 v[54:55], v27, s[8:9] offset:1040
	v_add_nc_u32_e32 v46, 0x200, v28
	v_lshlrev_b32_e32 v27, 3, v22
	v_and_b32_e32 v20, 0xffff, v20
	v_lshlrev_b32_sdwa v23, v51, v23 dst_sel:DWORD dst_unused:UNUSED_PAD src0_sel:DWORD src1_sel:WORD_0
	v_mul_u32_u24_e32 v4, 0xca8, v4
	global_load_dwordx2 v[56:57], v27, s[8:9] offset:1040
	v_lshlrev_b32_e32 v27, 3, v20
	v_add3_u32 v4, 0, v4, v23
	global_load_dwordx2 v[58:59], v27, s[8:9] offset:1040
	ds_read2_b32 v[60:61], v40 offset0:42 offset1:123
	ds_read2_b32 v[62:63], v34 offset0:84 offset1:165
	v_cndmask_b32_e64 v27, 0, 0xca8, s0
	v_add_co_u32 v6, s0, 0x800, v6
	v_add_co_ci_u32_e64 v7, s0, 0, v7, s0
	v_add3_u32 v24, 0, v27, v24
	ds_read2_b32 v[64:65], v30 offset0:76 offset1:157
	ds_read2_b32 v[66:67], v38 offset0:118 offset1:199
	ds_read_u16 v27, v28 offset:3566
	ds_read2_b32 v[68:69], v33 offset0:110 offset1:191
	ds_read2_b32 v[70:71], v31 offset0:152 offset1:233
	;; [unrolled: 1-line block ×6, first 2 shown]
	ds_read2_b32 v[80:81], v28 offset1:81
	ds_read2_b32 v[82:83], v28 offset0:162 offset1:243
	ds_read2_b32 v[84:85], v37 offset0:68 offset1:149
	;; [unrolled: 1-line block ×4, first 2 shown]
	s_waitcnt vmcnt(0) lgkmcnt(0)
	s_barrier
	buffer_gl0_inv
	v_add_co_u32 v8, s0, 0x800, v8
	v_add_co_ci_u32_e64 v9, s0, 0, v9, s0
	v_lshrrev_b32_e32 v93, 16, v64
	v_lshrrev_b32_e32 v94, 16, v66
	v_lshrrev_b32_e32 v95, 16, v65
	v_lshrrev_b32_e32 v96, 16, v67
	v_lshrrev_b32_e32 v90, 16, v60
	v_lshrrev_b32_e32 v91, 16, v62
	v_lshrrev_b32_e32 v92, 16, v63
	v_lshrrev_b32_e32 v97, 16, v68
	v_lshrrev_b32_e32 v98, 16, v70
	v_lshrrev_b32_e32 v99, 16, v69
	v_lshrrev_b32_e32 v100, 16, v71
	v_lshrrev_b32_e32 v101, 16, v72
	v_lshrrev_b32_e32 v102, 16, v74
	v_lshrrev_b32_e32 v103, 16, v73
	v_lshrrev_b32_e32 v104, 16, v75
	v_lshrrev_b32_e32 v105, 16, v76
	v_lshrrev_b32_e32 v107, 16, v77
	v_lshrrev_b32_e32 v108, 16, v79
	v_lshrrev_b32_e32 v106, 16, v78
	v_lshrrev_b32_e32 v110, 16, v82
	v_lshrrev_b32_e32 v109, 16, v80
	v_lshrrev_b32_e32 v111, 16, v81
	v_lshrrev_b32_e32 v112, 16, v83
	v_lshrrev_b32_e32 v113, 16, v84
	v_lshrrev_b32_e32 v114, 16, v85
	v_mul_f16_sdwa v119, v27, v16 dst_sel:DWORD dst_unused:UNUSED_PAD src0_sel:DWORD src1_sel:WORD_1
	v_mul_f16_sdwa v115, v18, v60 dst_sel:DWORD dst_unused:UNUSED_PAD src0_sel:WORD_1 src1_sel:DWORD
	v_mul_f16_sdwa v116, v19, v62 dst_sel:DWORD dst_unused:UNUSED_PAD src0_sel:WORD_1 src1_sel:DWORD
	;; [unrolled: 1-line block ×4, first 2 shown]
	v_mul_f16_sdwa v120, v92, v17 dst_sel:DWORD dst_unused:UNUSED_PAD src0_sel:DWORD src1_sel:WORD_1
	v_mul_f16_sdwa v121, v16, v61 dst_sel:DWORD dst_unused:UNUSED_PAD src0_sel:WORD_1 src1_sel:DWORD
	v_mul_f16_sdwa v122, v63, v17 dst_sel:DWORD dst_unused:UNUSED_PAD src0_sel:DWORD src1_sel:WORD_1
	v_mul_f16_sdwa v123, v64, v14 dst_sel:DWORD dst_unused:UNUSED_PAD src0_sel:DWORD src1_sel:WORD_1
	;; [unrolled: 1-line block ×18, first 2 shown]
	v_fmac_f16_e32 v115, v18, v90
	v_mul_f16_sdwa v90, v101, v52 dst_sel:DWORD dst_unused:UNUSED_PAD src0_sel:DWORD src1_sel:WORD_1
	v_fmac_f16_e32 v116, v19, v91
	v_mul_f16_sdwa v91, v74, v53 dst_sel:DWORD dst_unused:UNUSED_PAD src0_sel:DWORD src1_sel:WORD_1
	v_fma_f16 v18, v18, v60, -v117
	v_fma_f16 v19, v19, v62, -v118
	v_mul_f16_sdwa v60, v102, v53 dst_sel:DWORD dst_unused:UNUSED_PAD src0_sel:DWORD src1_sel:WORD_1
	v_mul_f16_sdwa v62, v103, v54 dst_sel:DWORD dst_unused:UNUSED_PAD src0_sel:DWORD src1_sel:WORD_1
	v_fma_f16 v61, v16, v61, -v119
	v_mul_f16_sdwa v117, v73, v54 dst_sel:DWORD dst_unused:UNUSED_PAD src0_sel:DWORD src1_sel:WORD_1
	v_mul_f16_sdwa v118, v104, v55 dst_sel:DWORD dst_unused:UNUSED_PAD src0_sel:DWORD src1_sel:WORD_1
	;; [unrolled: 3-line block ×3, first 2 shown]
	v_fmac_f16_e32 v121, v27, v16
	v_mul_f16_sdwa v16, v105, v56 dst_sel:DWORD dst_unused:UNUSED_PAD src0_sel:DWORD src1_sel:WORD_1
	v_fmac_f16_e32 v122, v92, v17
	v_mul_f16_sdwa v92, v107, v58 dst_sel:DWORD dst_unused:UNUSED_PAD src0_sel:DWORD src1_sel:WORD_1
	;; [unrolled: 2-line block ×4, first 2 shown]
	v_fma_f16 v14, v64, v14, -v124
	v_mul_f16_sdwa v64, v79, v59 dst_sel:DWORD dst_unused:UNUSED_PAD src0_sel:DWORD src1_sel:WORD_1
	v_mul_f16_sdwa v17, v78, v57 dst_sel:DWORD dst_unused:UNUSED_PAD src0_sel:DWORD src1_sel:WORD_1
	;; [unrolled: 1-line block ×3, first 2 shown]
	v_fma_f16 v15, v66, v15, -v126
	v_fmac_f16_e32 v129, v95, v12
	v_fmac_f16_e32 v130, v96, v13
	v_fma_f16 v65, v65, v12, -v127
	v_fma_f16 v66, v67, v13, -v128
	v_fmac_f16_e32 v131, v97, v47
	v_fmac_f16_e32 v133, v98, v48
	v_fma_f16 v12, v68, v47, -v132
	v_fma_f16 v13, v70, v48, -v134
	;; [unrolled: 1-line block ×4, first 2 shown]
	v_fmac_f16_e32 v136, v99, v25
	v_fmac_f16_e32 v138, v100, v26
	;; [unrolled: 1-line block ×4, first 2 shown]
	v_fma_f16 v25, v72, v52, -v90
	v_fma_f16 v26, v74, v53, -v60
	;; [unrolled: 1-line block ×4, first 2 shown]
	v_fmac_f16_e32 v117, v103, v54
	v_fmac_f16_e32 v119, v104, v55
	;; [unrolled: 1-line block ×3, first 2 shown]
	v_fma_f16 v16, v76, v56, -v16
	v_fma_f16 v54, v77, v58, -v92
	;; [unrolled: 1-line block ×3, first 2 shown]
	v_fmac_f16_e32 v93, v107, v58
	v_fmac_f16_e32 v64, v108, v59
	v_add_f16_e32 v56, v115, v116
	v_add_f16_e32 v58, v82, v14
	;; [unrolled: 1-line block ×4, first 2 shown]
	v_fmac_f16_e32 v17, v106, v57
	v_fma_f16 v27, v78, v57, -v27
	v_add_f16_e32 v57, v109, v115
	v_sub_f16_e32 v67, v18, v19
	v_add_f16_e32 v18, v80, v18
	v_add_f16_e32 v68, v81, v61
	;; [unrolled: 1-line block ×8, first 2 shown]
	v_sub_f16_e32 v60, v115, v116
	v_add_f16_e32 v73, v65, v66
	v_sub_f16_e32 v14, v14, v15
	v_fmac_f16_e32 v109, -0.5, v56
	v_add_f16_e32 v15, v58, v15
	v_add_f16_e32 v56, v59, v125
	v_fma_f16 v58, -0.5, v62, v80
	v_sub_f16_e32 v70, v121, v122
	v_sub_f16_e32 v61, v61, v63
	v_add_f16_e32 v18, v18, v19
	v_add_f16_e32 v19, v57, v116
	;; [unrolled: 1-line block ×4, first 2 shown]
	v_fmac_f16_e32 v81, -0.5, v72
	v_fmac_f16_e32 v111, -0.5, v71
	v_add_f16_e32 v74, v83, v65
	v_add_f16_e32 v76, v112, v129
	v_sub_f16_e32 v65, v65, v66
	v_sub_f16_e32 v90, v123, v125
	v_fmac_f16_e32 v112, -0.5, v75
	v_fma_f16 v62, -0.5, v78, v82
	v_fmac_f16_e32 v110, -0.5, v79
	v_sub_f16_e32 v77, v129, v130
	v_fmac_f16_e32 v83, -0.5, v73
	v_pack_b32_f16 v15, v15, v56
	v_fmamk_f16 v56, v60, 0x3aee, v58
	v_fmamk_f16 v73, v67, 0xbaee, v109
	v_pack_b32_f16 v18, v18, v19
	v_pack_b32_f16 v19, v57, v59
	v_fmamk_f16 v57, v70, 0x3aee, v81
	v_fmac_f16_e32 v81, 0xbaee, v70
	v_fmamk_f16 v59, v61, 0xbaee, v111
	v_fmac_f16_e32 v111, 0x3aee, v61
	v_fmac_f16_e32 v58, 0xbaee, v60
	;; [unrolled: 1-line block ×3, first 2 shown]
	v_fmamk_f16 v70, v65, 0xbaee, v112
	v_fmac_f16_e32 v112, 0x3aee, v65
	v_fmamk_f16 v60, v90, 0x3aee, v62
	v_fmamk_f16 v65, v14, 0xbaee, v110
	v_fmac_f16_e32 v62, 0xbaee, v90
	v_fmac_f16_e32 v110, 0x3aee, v14
	v_add_f16_e32 v63, v74, v66
	v_add_f16_e32 v66, v76, v130
	v_fmamk_f16 v61, v77, 0x3aee, v83
	v_pack_b32_f16 v56, v56, v73
	ds_write2_b32 v28, v18, v19 offset1:81
	v_pack_b32_f16 v18, v81, v111
	v_pack_b32_f16 v58, v58, v109
	;; [unrolled: 1-line block ×6, first 2 shown]
	v_add_f16_e32 v92, v84, v12
	v_add_f16_e32 v97, v131, v133
	;; [unrolled: 1-line block ×4, first 2 shown]
	v_pack_b32_f16 v61, v61, v70
	ds_write2_b32 v46, v15, v56 offset0:34 offset1:142
	ds_write2_b32 v32, v58, v18 offset0:28 offset1:109
	;; [unrolled: 1-line block ×3, first 2 shown]
	ds_write_b32 v28, v60 offset:2808
	ds_write_b32 v24, v14
	ds_write_b32 v24, v61 offset:1080
	v_add_f16_e32 v14, v136, v138
	v_add_f16_e32 v94, v113, v131
	;; [unrolled: 1-line block ×4, first 2 shown]
	v_sub_f16_e32 v98, v131, v133
	v_add_f16_e32 v68, v92, v13
	v_fmac_f16_e32 v113, -0.5, v97
	v_sub_f16_e32 v12, v12, v13
	v_fmac_f16_e32 v85, -0.5, v100
	v_fma_f16 v13, -0.5, v99, v84
	v_sub_f16_e32 v15, v136, v138
	v_fmac_f16_e32 v114, -0.5, v14
	v_sub_f16_e32 v14, v47, v48
	v_add_f16_e32 v69, v94, v133
	v_add_f16_e32 v71, v95, v48
	;; [unrolled: 1-line block ×3, first 2 shown]
	v_fmac_f16_e32 v83, 0xbaee, v77
	v_fmamk_f16 v46, v98, 0x3aee, v13
	v_fmamk_f16 v47, v12, 0xbaee, v113
	;; [unrolled: 1-line block ×4, first 2 shown]
	v_fmac_f16_e32 v85, 0xbaee, v15
	v_fmac_f16_e32 v114, 0x3aee, v14
	;; [unrolled: 1-line block ×4, first 2 shown]
	v_pack_b32_f16 v63, v68, v69
	v_pack_b32_f16 v19, v83, v112
	;; [unrolled: 1-line block ×7, first 2 shown]
	ds_write_b32 v24, v19 offset:2160
	ds_write2_b32 v40, v63, v18 offset0:96 offset1:177
	ds_write2_b32 v33, v12, v14 offset0:110 offset1:191
	v_add_f16_e32 v12, v25, v26
	v_lshrrev_b32_e32 v14, 16, v86
	ds_write2_b32 v36, v13, v15 offset0:124 offset1:205
	v_add_f16_e32 v13, v139, v91
	v_add_f16_e32 v15, v86, v25
	v_fma_f16 v12, -0.5, v12, v86
	v_sub_f16_e32 v18, v139, v91
	v_add_f16_e32 v19, v14, v139
	v_fmac_f16_e32 v14, -0.5, v13
	v_sub_f16_e32 v13, v25, v26
	v_add_f16_e32 v15, v15, v26
	v_fmamk_f16 v24, v18, 0x3aee, v12
	v_fmac_f16_e32 v12, 0xbaee, v18
	v_add_f16_e32 v18, v19, v91
	v_fmamk_f16 v19, v13, 0xbaee, v14
	v_add_f16_e32 v25, v52, v53
	v_fmac_f16_e32 v14, 0x3aee, v13
	v_lshrrev_b32_e32 v13, 16, v87
	v_add_f16_e32 v26, v117, v119
	v_add_f16_e32 v46, v87, v52
	v_fmac_f16_e32 v87, -0.5, v25
	v_sub_f16_e32 v25, v117, v119
	v_add_f16_e32 v47, v13, v117
	v_fmac_f16_e32 v13, -0.5, v26
	v_sub_f16_e32 v26, v52, v53
	v_add_f16_e32 v46, v46, v53
	v_add_f16_e32 v53, v16, v27
	v_fmamk_f16 v48, v25, 0x3aee, v87
	v_fmac_f16_e32 v87, 0xbaee, v25
	v_add_f16_e32 v25, v47, v119
	v_fmamk_f16 v47, v26, 0xbaee, v13
	v_lshrrev_b32_e32 v52, 16, v88
	v_fmac_f16_e32 v13, 0x3aee, v26
	v_add_f16_e32 v26, v120, v17
	v_add_f16_e32 v56, v88, v16
	v_fma_f16 v53, -0.5, v53, v88
	v_sub_f16_e32 v58, v120, v17
	v_add_f16_e32 v57, v52, v120
	v_fmac_f16_e32 v52, -0.5, v26
	v_add_f16_e32 v26, v56, v27
	v_add_f16_e32 v56, v54, v55
	v_lshrrev_b32_e32 v59, 16, v89
	v_sub_f16_e32 v16, v16, v27
	v_fmamk_f16 v27, v58, 0x3aee, v53
	v_fmac_f16_e32 v53, 0xbaee, v58
	v_add_f16_e32 v58, v93, v64
	v_pack_b32_f16 v15, v15, v18
	v_add_f16_e32 v60, v89, v54
	v_fmac_f16_e32 v89, -0.5, v56
	v_sub_f16_e32 v56, v93, v64
	v_add_f16_e32 v51, v59, v93
	v_pack_b32_f16 v18, v24, v19
	v_fmac_f16_e32 v59, -0.5, v58
	v_sub_f16_e32 v54, v54, v55
	v_add_f16_e32 v17, v57, v17
	v_fmamk_f16 v57, v16, 0xbaee, v52
	v_pack_b32_f16 v12, v12, v14
	v_fmac_f16_e32 v52, 0x3aee, v16
	ds_write_b32 v4, v15
	ds_write_b32 v4, v18 offset:1080
	v_lshl_add_u32 v14, v21, 2, 0
	v_pack_b32_f16 v15, v46, v25
	v_fmamk_f16 v16, v56, 0x3aee, v89
	v_fmac_f16_e32 v89, 0xbaee, v56
	v_add_f16_e32 v56, v60, v55
	v_add_f16_e32 v19, v51, v64
	v_pack_b32_f16 v18, v48, v47
	v_fmamk_f16 v23, v54, 0xbaee, v59
	v_pack_b32_f16 v13, v87, v13
	v_fmac_f16_e32 v59, 0x3aee, v54
	v_lshl_add_u32 v21, v22, 2, 0
	v_pack_b32_f16 v17, v26, v17
	ds_write_b32 v4, v12 offset:2160
	ds_write_b32 v14, v15 offset:6480
	;; [unrolled: 1-line block ×5, first 2 shown]
	v_pack_b32_f16 v4, v27, v57
	v_pack_b32_f16 v12, v53, v52
	v_lshl_add_u32 v13, v20, 2, 0
	v_pack_b32_f16 v14, v56, v19
	v_pack_b32_f16 v15, v16, v23
	v_pack_b32_f16 v16, v89, v59
	ds_write_b32 v21, v4 offset:7560
	ds_write_b32 v21, v12 offset:8640
	;; [unrolled: 1-line block ×5, first 2 shown]
	v_lshlrev_b32_e32 v4, 1, v41
	v_add_co_u32 v14, s0, 0x800, v10
	v_add_co_ci_u32_e64 v15, s0, 0, v11, s0
	v_lshlrev_b64 v[12:13], 2, v[4:5]
	v_lshlrev_b32_e32 v4, 1, v43
	s_waitcnt lgkmcnt(0)
	s_barrier
	buffer_gl0_inv
	v_add_co_u32 v10, s0, s8, v12
	v_add_co_ci_u32_e64 v11, s0, s9, v13, s0
	v_lshlrev_b64 v[18:19], 2, v[4:5]
	v_add_co_u32 v16, s0, 0x800, v10
	v_lshlrev_b32_e32 v4, 1, v42
	v_add_co_ci_u32_e64 v17, s0, 0, v11, s0
	s_clause 0x3
	global_load_dwordx2 v[12:13], v[6:7], off offset:1152
	global_load_dwordx2 v[10:11], v[8:9], off offset:1152
	;; [unrolled: 1-line block ×4, first 2 shown]
	v_add_co_u32 v16, s0, s8, v18
	v_add_co_ci_u32_e64 v17, s0, s9, v19, s0
	v_lshlrev_b64 v[14:15], 2, v[4:5]
	v_add_co_u32 v16, s0, 0x800, v16
	v_lshlrev_b32_e32 v4, 1, v45
	v_add_co_ci_u32_e64 v17, s0, 0, v17, s0
	v_add_co_u32 v18, s0, s8, v14
	v_add_co_ci_u32_e64 v19, s0, s9, v15, s0
	v_lshlrev_b64 v[14:15], 2, v[4:5]
	v_add_co_u32 v18, s0, 0x800, v18
	v_lshlrev_b32_e32 v4, 1, v44
	v_add_co_ci_u32_e64 v19, s0, 0, v19, s0
	v_add_co_u32 v20, s0, s8, v14
	v_add_co_ci_u32_e64 v21, s0, s9, v15, s0
	v_lshlrev_b64 v[14:15], 2, v[4:5]
	v_lshlrev_b32_e32 v4, 1, v50
	v_add_co_u32 v20, s0, 0x800, v20
	v_add_co_ci_u32_e64 v21, s0, 0, v21, s0
	v_add_co_u32 v14, s0, s8, v14
	v_lshlrev_b64 v[22:23], 2, v[4:5]
	v_lshlrev_b32_e32 v4, 1, v49
	v_add_co_ci_u32_e64 v15, s0, s9, v15, s0
	v_add_co_u32 v14, s0, 0x800, v14
	v_lshlrev_b64 v[24:25], 2, v[4:5]
	v_add_co_ci_u32_e64 v15, s0, 0, v15, s0
	v_add_co_u32 v4, s0, s8, v22
	v_add_co_ci_u32_e64 v23, s0, s9, v23, s0
	v_add_co_u32 v24, s0, s8, v24
	;; [unrolled: 2-line block ×4, first 2 shown]
	v_add_co_ci_u32_e64 v25, s0, 0, v25, s0
	s_clause 0x5
	global_load_dwordx2 v[16:17], v[16:17], off offset:1152
	global_load_dwordx2 v[18:19], v[18:19], off offset:1152
	;; [unrolled: 1-line block ×6, first 2 shown]
	ds_read2_b32 v[26:27], v40 offset0:42 offset1:123
	ds_read2_b32 v[41:42], v34 offset0:84 offset1:165
	;; [unrolled: 1-line block ×10, first 2 shown]
	ds_read_u16 v4, v28 offset:3566
	ds_read2_b32 v[59:60], v28 offset1:81
	ds_read2_b32 v[61:62], v28 offset0:162 offset1:243
	s_waitcnt lgkmcnt(12)
	v_lshrrev_b32_e32 v63, 16, v26
	s_waitcnt lgkmcnt(11)
	v_lshrrev_b32_e32 v64, 16, v41
	v_lshrrev_b32_e32 v65, 16, v42
	s_waitcnt lgkmcnt(10)
	v_lshrrev_b32_e32 v66, 16, v43
	s_waitcnt lgkmcnt(9)
	v_lshrrev_b32_e32 v67, 16, v45
	v_lshrrev_b32_e32 v68, 16, v44
	;; [unrolled: 1-line block ×3, first 2 shown]
	s_waitcnt lgkmcnt(8)
	v_lshrrev_b32_e32 v70, 16, v47
	v_lshrrev_b32_e32 v72, 16, v48
	s_waitcnt lgkmcnt(7)
	v_lshrrev_b32_e32 v73, 16, v50
	s_waitcnt lgkmcnt(6)
	;; [unrolled: 2-line block ×3, first 2 shown]
	v_lshrrev_b32_e32 v75, 16, v53
	v_lshrrev_b32_e32 v76, 16, v52
	;; [unrolled: 1-line block ×3, first 2 shown]
	s_waitcnt lgkmcnt(4)
	v_lshrrev_b32_e32 v78, 16, v55
	s_waitcnt lgkmcnt(3)
	v_lshrrev_b32_e32 v79, 16, v57
	;; [unrolled: 2-line block ×3, first 2 shown]
	v_lshrrev_b32_e32 v83, 16, v60
	v_lshrrev_b32_e32 v71, 16, v49
	;; [unrolled: 1-line block ×4, first 2 shown]
	s_waitcnt vmcnt(9)
	v_mul_f16_sdwa v84, v12, v26 dst_sel:DWORD dst_unused:UNUSED_PAD src0_sel:WORD_1 src1_sel:DWORD
	v_mul_f16_sdwa v85, v13, v41 dst_sel:DWORD dst_unused:UNUSED_PAD src0_sel:WORD_1 src1_sel:DWORD
	;; [unrolled: 1-line block ×4, first 2 shown]
	s_waitcnt vmcnt(8)
	v_mul_f16_sdwa v88, v4, v10 dst_sel:DWORD dst_unused:UNUSED_PAD src0_sel:DWORD src1_sel:WORD_1
	v_mul_f16_sdwa v89, v65, v11 dst_sel:DWORD dst_unused:UNUSED_PAD src0_sel:DWORD src1_sel:WORD_1
	v_mul_f16_sdwa v90, v10, v27 dst_sel:DWORD dst_unused:UNUSED_PAD src0_sel:WORD_1 src1_sel:DWORD
	v_mul_f16_sdwa v91, v42, v11 dst_sel:DWORD dst_unused:UNUSED_PAD src0_sel:DWORD src1_sel:WORD_1
	s_waitcnt vmcnt(7)
	v_mul_f16_sdwa v92, v43, v8 dst_sel:DWORD dst_unused:UNUSED_PAD src0_sel:DWORD src1_sel:WORD_1
	v_mul_f16_sdwa v93, v45, v9 dst_sel:DWORD dst_unused:UNUSED_PAD src0_sel:DWORD src1_sel:WORD_1
	;; [unrolled: 1-line block ×4, first 2 shown]
	s_waitcnt vmcnt(6)
	v_mul_f16_sdwa v96, v68, v6 dst_sel:DWORD dst_unused:UNUSED_PAD src0_sel:DWORD src1_sel:WORD_1
	v_mul_f16_sdwa v97, v69, v7 dst_sel:DWORD dst_unused:UNUSED_PAD src0_sel:DWORD src1_sel:WORD_1
	;; [unrolled: 1-line block ×4, first 2 shown]
	v_fmac_f16_e32 v84, v12, v63
	v_fmac_f16_e32 v85, v13, v64
	v_fma_f16 v12, v12, v26, -v86
	v_fma_f16 v13, v13, v41, -v87
	;; [unrolled: 1-line block ×4, first 2 shown]
	v_fmac_f16_e32 v90, v4, v10
	v_fmac_f16_e32 v91, v65, v11
	;; [unrolled: 1-line block ×4, first 2 shown]
	v_fma_f16 v4, v43, v8, -v94
	v_fma_f16 v41, v45, v9, -v95
	;; [unrolled: 1-line block ×4, first 2 shown]
	v_fmac_f16_e32 v98, v68, v6
	v_fmac_f16_e32 v99, v69, v7
	v_add_f16_e32 v6, v84, v85
	v_add_f16_e32 v7, v26, v27
	;; [unrolled: 1-line block ×5, first 2 shown]
	v_sub_f16_e32 v10, v84, v85
	v_sub_f16_e32 v11, v12, v13
	v_fmac_f16_e32 v83, -0.5, v8
	v_add_f16_e32 v12, v59, v12
	v_add_f16_e32 v12, v12, v13
	s_waitcnt vmcnt(5)
	v_mul_f16_sdwa v100, v47, v16 dst_sel:DWORD dst_unused:UNUSED_PAD src0_sel:DWORD src1_sel:WORD_1
	v_mul_f16_sdwa v102, v70, v16 dst_sel:DWORD dst_unused:UNUSED_PAD src0_sel:DWORD src1_sel:WORD_1
	s_waitcnt vmcnt(4)
	v_mul_f16_sdwa v104, v72, v18 dst_sel:DWORD dst_unused:UNUSED_PAD src0_sel:DWORD src1_sel:WORD_1
	v_mul_f16_sdwa v105, v73, v19 dst_sel:DWORD dst_unused:UNUSED_PAD src0_sel:DWORD src1_sel:WORD_1
	v_mul_f16_sdwa v106, v48, v18 dst_sel:DWORD dst_unused:UNUSED_PAD src0_sel:DWORD src1_sel:WORD_1
	v_mul_f16_sdwa v107, v50, v19 dst_sel:DWORD dst_unused:UNUSED_PAD src0_sel:DWORD src1_sel:WORD_1
	s_waitcnt vmcnt(3)
	v_mul_f16_sdwa v108, v51, v20 dst_sel:DWORD dst_unused:UNUSED_PAD src0_sel:DWORD src1_sel:WORD_1
	v_mul_f16_sdwa v109, v53, v21 dst_sel:DWORD dst_unused:UNUSED_PAD src0_sel:DWORD src1_sel:WORD_1
	;; [unrolled: 5-line block ×4, first 2 shown]
	v_mul_f16_sdwa v118, v57, v23 dst_sel:DWORD dst_unused:UNUSED_PAD src0_sel:DWORD src1_sel:WORD_1
	v_mul_f16_sdwa v119, v79, v23 dst_sel:DWORD dst_unused:UNUSED_PAD src0_sel:DWORD src1_sel:WORD_1
	v_fmac_f16_e32 v100, v70, v16
	v_fma_f16 v16, v47, v16, -v102
	v_fma_f16 v44, v48, v18, -v104
	;; [unrolled: 1-line block ×3, first 2 shown]
	v_fmac_f16_e32 v106, v72, v18
	v_fmac_f16_e32 v107, v73, v19
	v_fmac_f16_e32 v108, v74, v20
	v_fmac_f16_e32 v109, v75, v21
	v_fma_f16 v18, v51, v20, -v110
	v_fma_f16 v19, v53, v21, -v111
	;; [unrolled: 1-line block ×4, first 2 shown]
	v_fmac_f16_e32 v114, v76, v14
	v_fmac_f16_e32 v115, v77, v15
	;; [unrolled: 1-line block ×4, first 2 shown]
	v_fma_f16 v14, v55, v22, -v117
	v_fma_f16 v15, v57, v23, -v119
	v_add_f16_e32 v22, v82, v84
	v_add_f16_e32 v23, v60, v26
	v_sub_f16_e32 v47, v90, v91
	v_sub_f16_e32 v26, v26, v27
	v_fma_f16 v48, -0.5, v9, v59
	v_fmac_f16_e32 v82, -0.5, v6
	v_fmac_f16_e32 v60, -0.5, v7
	v_mul_f16_sdwa v101, v49, v17 dst_sel:DWORD dst_unused:UNUSED_PAD src0_sel:DWORD src1_sel:WORD_1
	v_mul_f16_sdwa v103, v71, v17 dst_sel:DWORD dst_unused:UNUSED_PAD src0_sel:DWORD src1_sel:WORD_1
	s_waitcnt vmcnt(0)
	v_mul_f16_sdwa v120, v80, v24 dst_sel:DWORD dst_unused:UNUSED_PAD src0_sel:DWORD src1_sel:WORD_1
	v_mul_f16_sdwa v121, v56, v24 dst_sel:DWORD dst_unused:UNUSED_PAD src0_sel:DWORD src1_sel:WORD_1
	;; [unrolled: 1-line block ×4, first 2 shown]
	v_fmamk_f16 v6, v10, 0x3aee, v48
	v_fmamk_f16 v7, v11, 0xbaee, v82
	;; [unrolled: 1-line block ×4, first 2 shown]
	v_fmac_f16_e32 v48, 0xbaee, v10
	v_fmac_f16_e32 v82, 0x3aee, v11
	;; [unrolled: 1-line block ×5, first 2 shown]
	v_fma_f16 v17, v49, v17, -v103
	v_fma_f16 v49, v56, v24, -v120
	;; [unrolled: 1-line block ×3, first 2 shown]
	v_fmac_f16_e32 v121, v80, v24
	v_fmac_f16_e32 v123, v81, v25
	v_pack_b32_f16 v24, v6, v7
	v_pack_b32_f16 v25, v8, v9
	;; [unrolled: 1-line block ×4, first 2 shown]
	ds_read2_b32 v[6:7], v37 offset0:68 offset1:149
	ds_read2_b32 v[8:9], v1 offset0:102 offset1:183
	;; [unrolled: 1-line block ×3, first 2 shown]
	s_waitcnt lgkmcnt(0)
	s_barrier
	buffer_gl0_inv
	ds_write2_b32 v40, v24, v25 offset0:42 offset1:123
	ds_write2_b32 v34, v26, v47 offset0:84 offset1:165
	v_add_f16_e32 v13, v22, v85
	v_add_f16_e32 v22, v23, v27
	v_lshrrev_b32_e32 v23, 16, v61
	v_add_f16_e32 v24, v92, v93
	v_add_f16_e32 v25, v4, v41
	;; [unrolled: 1-line block ×5, first 2 shown]
	v_fmac_f16_e32 v23, -0.5, v24
	v_fma_f16 v24, -0.5, v25, v61
	v_sub_f16_e32 v25, v92, v93
	v_pack_b32_f16 v12, v12, v13
	v_pack_b32_f16 v13, v22, v26
	v_sub_f16_e32 v4, v4, v41
	v_lshrrev_b32_e32 v26, 16, v62
	v_fmamk_f16 v22, v25, 0x3aee, v24
	v_fmac_f16_e32 v24, 0xbaee, v25
	v_add_f16_e32 v25, v34, v93
	ds_write2_b32 v28, v12, v13 offset1:81
	v_add_f16_e32 v12, v42, v43
	v_fmamk_f16 v13, v4, 0xbaee, v23
	v_fmac_f16_e32 v23, 0x3aee, v4
	v_add_f16_e32 v4, v98, v99
	v_add_f16_e32 v34, v62, v42
	;; [unrolled: 1-line block ×3, first 2 shown]
	v_fmac_f16_e32 v62, -0.5, v12
	v_add_f16_e32 v12, v26, v98
	v_sub_f16_e32 v40, v98, v99
	v_fmac_f16_e32 v26, -0.5, v4
	v_add_f16_e32 v4, v34, v43
	v_add_f16_e32 v34, v16, v17
	v_sub_f16_e32 v41, v42, v43
	v_fmamk_f16 v42, v40, 0x3aee, v62
	v_fmac_f16_e32 v62, 0xbaee, v40
	v_add_f16_e32 v12, v12, v99
	v_fma_f16 v34, -0.5, v34, v6
	v_sub_f16_e32 v40, v100, v101
	v_fmamk_f16 v43, v41, 0xbaee, v26
	v_fmac_f16_e32 v26, 0x3aee, v41
	v_lshrrev_b32_e32 v41, 16, v6
	v_add_f16_e32 v46, v100, v101
	v_fmamk_f16 v47, v40, 0x3aee, v34
	v_fmac_f16_e32 v34, 0xbaee, v40
	v_add_f16_e32 v6, v6, v16
	v_add_f16_e32 v40, v41, v100
	v_fmac_f16_e32 v41, -0.5, v46
	v_pack_b32_f16 v25, v27, v25
	v_pack_b32_f16 v4, v4, v12
	v_sub_f16_e32 v12, v16, v17
	v_add_f16_e32 v6, v6, v17
	v_lshrrev_b32_e32 v17, 16, v7
	v_add_f16_e32 v16, v40, v101
	ds_write2_b32 v28, v25, v4 offset0:162 offset1:243
	v_add_f16_e32 v4, v44, v45
	v_fmamk_f16 v25, v12, 0xbaee, v41
	v_fmac_f16_e32 v41, 0x3aee, v12
	v_add_f16_e32 v12, v106, v107
	v_add_f16_e32 v27, v7, v44
	v_fmac_f16_e32 v7, -0.5, v4
	v_sub_f16_e32 v4, v106, v107
	v_add_f16_e32 v28, v17, v106
	v_fmac_f16_e32 v17, -0.5, v12
	v_sub_f16_e32 v40, v44, v45
	v_lshrrev_b32_e32 v12, 16, v8
	v_add_f16_e32 v27, v27, v45
	v_fmamk_f16 v44, v4, 0x3aee, v7
	v_fmac_f16_e32 v7, 0xbaee, v4
	v_add_f16_e32 v4, v28, v107
	v_fmamk_f16 v28, v40, 0xbaee, v17
	v_add_f16_e32 v45, v18, v19
	v_fmac_f16_e32 v17, 0x3aee, v40
	v_add_f16_e32 v40, v108, v109
	v_add_f16_e32 v46, v8, v18
	v_add_f16_e32 v48, v12, v108
	v_fma_f16 v8, -0.5, v45, v8
	v_sub_f16_e32 v45, v108, v109
	v_fmac_f16_e32 v12, -0.5, v40
	v_sub_f16_e32 v18, v18, v19
	v_lshrrev_b32_e32 v40, 16, v9
	v_add_f16_e32 v46, v46, v19
	v_fmamk_f16 v19, v45, 0x3aee, v8
	v_fmac_f16_e32 v8, 0xbaee, v45
	v_add_f16_e32 v45, v20, v21
	v_fmamk_f16 v51, v18, 0xbaee, v12
	v_fmac_f16_e32 v12, 0x3aee, v18
	v_add_f16_e32 v18, v114, v115
	v_add_f16_e32 v52, v9, v20
	v_fmac_f16_e32 v9, -0.5, v45
	v_sub_f16_e32 v45, v114, v115
	v_add_f16_e32 v53, v40, v114
	v_fmac_f16_e32 v40, -0.5, v18
	v_sub_f16_e32 v20, v20, v21
	v_add_f16_e32 v18, v52, v21
	v_fmamk_f16 v21, v45, 0x3aee, v9
	v_fmac_f16_e32 v9, 0xbaee, v45
	v_lshrrev_b32_e32 v45, 16, v10
	v_add_f16_e32 v52, v53, v115
	v_fmamk_f16 v53, v20, 0xbaee, v40
	v_add_f16_e32 v54, v14, v15
	v_fmac_f16_e32 v40, 0x3aee, v20
	v_add_f16_e32 v20, v116, v118
	v_add_f16_e32 v55, v10, v14
	;; [unrolled: 1-line block ×3, first 2 shown]
	v_fma_f16 v10, -0.5, v54, v10
	v_sub_f16_e32 v54, v116, v118
	v_fmac_f16_e32 v45, -0.5, v20
	v_add_f16_e32 v20, v55, v15
	v_sub_f16_e32 v14, v14, v15
	v_add_f16_e32 v15, v49, v50
	v_fmamk_f16 v55, v54, 0x3aee, v10
	v_fmac_f16_e32 v10, 0xbaee, v54
	v_lshrrev_b32_e32 v54, 16, v11
	v_add_f16_e32 v57, v11, v49
	v_fmac_f16_e32 v11, -0.5, v15
	v_sub_f16_e32 v15, v121, v123
	v_add_f16_e32 v59, v121, v123
	v_add_f16_e32 v48, v48, v109
	v_pack_b32_f16 v13, v22, v13
	v_pack_b32_f16 v22, v42, v43
	;; [unrolled: 1-line block ×6, first 2 shown]
	v_fmamk_f16 v58, v14, 0xbaee, v45
	v_fmac_f16_e32 v45, 0x3aee, v14
	v_fmamk_f16 v14, v15, 0x3aee, v11
	v_fmac_f16_e32 v11, 0xbaee, v15
	v_add_f16_e32 v15, v54, v121
	v_fmac_f16_e32 v54, -0.5, v59
	v_sub_f16_e32 v49, v49, v50
	ds_write2_b32 v30, v13, v22 offset0:76 offset1:157
	ds_write2_b32 v38, v23, v26 offset0:118 offset1:199
	v_pack_b32_f16 v13, v47, v25
	v_pack_b32_f16 v22, v44, v28
	ds_write2_b32 v37, v6, v4 offset0:68 offset1:149
	v_pack_b32_f16 v4, v46, v48
	v_pack_b32_f16 v6, v18, v52
	;; [unrolled: 1-line block ×4, first 2 shown]
	v_add_f16_e32 v56, v56, v118
	v_add_f16_e32 v57, v57, v50
	;; [unrolled: 1-line block ×3, first 2 shown]
	v_fmamk_f16 v24, v49, 0xbaee, v54
	v_fmac_f16_e32 v54, 0x3aee, v49
	ds_write2_b32 v33, v13, v22 offset0:110 offset1:191
	ds_write2_b32 v31, v16, v7 offset0:152 offset1:233
	v_pack_b32_f16 v7, v19, v51
	ds_write2_b32 v1, v4, v6 offset0:102 offset1:183
	v_pack_b32_f16 v1, v21, v53
	v_pack_b32_f16 v8, v8, v12
	;; [unrolled: 1-line block ×9, first 2 shown]
	ds_write2_b32 v36, v7, v1 offset0:16 offset1:97
	ds_write2_b32 v35, v8, v4 offset0:58 offset1:139
	ds_write2_b32 v32, v6, v12 offset0:136 offset1:217
	ds_write2_b32 v29, v9, v13 offset0:50 offset1:131
	ds_write2_b32 v39, v10, v11 offset0:92 offset1:173
	s_waitcnt lgkmcnt(0)
	s_barrier
	buffer_gl0_inv
	s_and_saveexec_b32 s0, vcc_lo
	s_cbranch_execz .LBB0_19
; %bb.18:
	v_lshl_add_u32 v20, v0, 2, 0
	v_mov_b32_e32 v1, v5
	v_add_nc_u32_e32 v4, 0x51, v0
	v_add_co_u32 v21, vcc_lo, s2, v2
	ds_read2_b32 v[6:7], v20 offset1:81
	v_lshlrev_b64 v[8:9], 2, v[0:1]
	v_lshlrev_b64 v[10:11], 2, v[4:5]
	v_add_nc_u32_e32 v4, 0xa2, v0
	ds_read2_b32 v[1:2], v20 offset0:162 offset1:243
	v_add_co_ci_u32_e32 v22, vcc_lo, s3, v3, vcc_lo
	v_add_co_u32 v8, vcc_lo, v21, v8
	v_lshlrev_b64 v[12:13], 2, v[4:5]
	v_add_nc_u32_e32 v4, 0xf3, v0
	v_add_co_ci_u32_e32 v9, vcc_lo, v22, v9, vcc_lo
	v_add_co_u32 v10, vcc_lo, v21, v10
	v_lshlrev_b64 v[14:15], 2, v[4:5]
	v_add_co_ci_u32_e32 v11, vcc_lo, v22, v11, vcc_lo
	v_add_nc_u32_e32 v4, 0x144, v0
	v_add_nc_u32_e32 v3, 0x400, v20
	s_waitcnt lgkmcnt(1)
	global_store_dword v[8:9], v6, off
	v_add_co_u32 v8, vcc_lo, v21, v12
	v_add_co_ci_u32_e32 v9, vcc_lo, v22, v13, vcc_lo
	v_add_co_u32 v12, vcc_lo, v21, v14
	v_add_co_ci_u32_e32 v13, vcc_lo, v22, v15, vcc_lo
	v_lshlrev_b64 v[14:15], 2, v[4:5]
	v_add_nc_u32_e32 v4, 0x195, v0
	global_store_dword v[10:11], v7, off
	s_waitcnt lgkmcnt(0)
	global_store_dword v[8:9], v1, off
	global_store_dword v[12:13], v2, off
	ds_read2_b32 v[1:2], v3 offset0:68 offset1:149
	v_add_nc_u32_e32 v3, 0x600, v20
	v_lshlrev_b64 v[6:7], 2, v[4:5]
	v_add_nc_u32_e32 v4, 0x1e6, v0
	v_add_co_u32 v8, vcc_lo, v21, v14
	ds_read2_b32 v[10:11], v3 offset0:102 offset1:183
	v_add_nc_u32_e32 v3, 0x800, v20
	v_lshlrev_b64 v[12:13], 2, v[4:5]
	v_add_nc_u32_e32 v4, 0x237, v0
	v_add_co_ci_u32_e32 v9, vcc_lo, v22, v15, vcc_lo
	v_add_co_u32 v6, vcc_lo, v21, v6
	v_lshlrev_b64 v[14:15], 2, v[4:5]
	v_add_nc_u32_e32 v4, 0x288, v0
	v_add_co_ci_u32_e32 v7, vcc_lo, v22, v7, vcc_lo
	v_add_co_u32 v12, vcc_lo, v21, v12
	ds_read2_b32 v[16:17], v3 offset0:136 offset1:217
	v_add_co_ci_u32_e32 v13, vcc_lo, v22, v13, vcc_lo
	v_lshlrev_b64 v[18:19], 2, v[4:5]
	v_add_nc_u32_e32 v4, 0x2d9, v0
	v_add_co_u32 v14, vcc_lo, v21, v14
	v_add_co_ci_u32_e32 v15, vcc_lo, v22, v15, vcc_lo
	s_waitcnt lgkmcnt(2)
	global_store_dword v[8:9], v1, off
	global_store_dword v[6:7], v2, off
	s_waitcnt lgkmcnt(1)
	global_store_dword v[12:13], v10, off
	global_store_dword v[14:15], v11, off
	v_lshlrev_b64 v[1:2], 2, v[4:5]
	v_add_co_u32 v6, vcc_lo, v21, v18
	v_add_co_ci_u32_e32 v7, vcc_lo, v22, v19, vcc_lo
	v_add_nc_u32_e32 v4, 0x32a, v0
	v_add_co_u32 v1, vcc_lo, v21, v1
	v_add_co_ci_u32_e32 v2, vcc_lo, v22, v2, vcc_lo
	v_add_nc_u32_e32 v3, 0xc00, v20
	v_add_nc_u32_e32 v10, 0xe00, v20
	v_lshlrev_b64 v[8:9], 2, v[4:5]
	v_add_nc_u32_e32 v4, 0x37b, v0
	s_waitcnt lgkmcnt(0)
	global_store_dword v[1:2], v17, off
	ds_read2_b32 v[1:2], v3 offset0:42 offset1:123
	ds_read2_b32 v[10:11], v10 offset0:76 offset1:157
	global_store_dword v[6:7], v16, off
	v_lshlrev_b64 v[6:7], 2, v[4:5]
	v_add_nc_u32_e32 v4, 0x3cc, v0
	v_add_co_u32 v8, vcc_lo, v21, v8
	v_add_co_ci_u32_e32 v9, vcc_lo, v22, v9, vcc_lo
	v_lshlrev_b64 v[12:13], 2, v[4:5]
	v_add_co_u32 v6, vcc_lo, v21, v6
	v_add_co_ci_u32_e32 v7, vcc_lo, v22, v7, vcc_lo
	v_add_nc_u32_e32 v4, 0x41d, v0
	v_add_co_u32 v12, vcc_lo, v21, v12
	v_add_nc_u32_e32 v3, 0x1000, v20
	v_add_co_ci_u32_e32 v13, vcc_lo, v22, v13, vcc_lo
	v_lshlrev_b64 v[14:15], 2, v[4:5]
	v_add_nc_u32_e32 v4, 0x46e, v0
	s_waitcnt lgkmcnt(1)
	global_store_dword v[8:9], v1, off
	global_store_dword v[6:7], v2, off
	s_waitcnt lgkmcnt(0)
	global_store_dword v[12:13], v10, off
	ds_read2_b32 v[1:2], v3 offset0:110 offset1:191
	v_add_nc_u32_e32 v3, 0x1400, v20
	v_lshlrev_b64 v[6:7], 2, v[4:5]
	v_add_nc_u32_e32 v4, 0x4bf, v0
	v_add_co_u32 v8, vcc_lo, v21, v14
	v_add_co_ci_u32_e32 v9, vcc_lo, v22, v15, vcc_lo
	v_lshlrev_b64 v[12:13], 2, v[4:5]
	v_add_co_u32 v6, vcc_lo, v21, v6
	v_add_co_ci_u32_e32 v7, vcc_lo, v22, v7, vcc_lo
	v_add_nc_u32_e32 v4, 0x510, v0
	v_add_co_u32 v12, vcc_lo, v21, v12
	v_add_co_ci_u32_e32 v13, vcc_lo, v22, v13, vcc_lo
	v_lshlrev_b64 v[14:15], 2, v[4:5]
	v_add_nc_u32_e32 v4, 0x561, v0
	global_store_dword v[8:9], v11, off
	s_waitcnt lgkmcnt(0)
	global_store_dword v[6:7], v1, off
	global_store_dword v[12:13], v2, off
	ds_read2_b32 v[1:2], v3 offset0:16 offset1:97
	v_add_nc_u32_e32 v3, 0x1600, v20
	v_lshlrev_b64 v[6:7], 2, v[4:5]
	v_add_nc_u32_e32 v4, 0x5b2, v0
	v_add_co_u32 v8, vcc_lo, v21, v14
	ds_read2_b32 v[10:11], v3 offset0:50 offset1:131
	v_add_nc_u32_e32 v3, 0x1800, v20
	v_lshlrev_b64 v[12:13], 2, v[4:5]
	v_add_nc_u32_e32 v4, 0x603, v0
	v_add_co_ci_u32_e32 v9, vcc_lo, v22, v15, vcc_lo
	v_add_co_u32 v6, vcc_lo, v21, v6
	v_lshlrev_b64 v[14:15], 2, v[4:5]
	v_add_nc_u32_e32 v4, 0x654, v0
	v_add_co_ci_u32_e32 v7, vcc_lo, v22, v7, vcc_lo
	ds_read2_b32 v[16:17], v3 offset0:84 offset1:165
	v_add_co_u32 v12, vcc_lo, v21, v12
	v_add_co_ci_u32_e32 v13, vcc_lo, v22, v13, vcc_lo
	v_lshlrev_b64 v[18:19], 2, v[4:5]
	v_add_nc_u32_e32 v4, 0x6a5, v0
	v_add_co_u32 v14, vcc_lo, v21, v14
	v_add_co_ci_u32_e32 v15, vcc_lo, v22, v15, vcc_lo
	s_waitcnt lgkmcnt(2)
	global_store_dword v[8:9], v1, off
	global_store_dword v[6:7], v2, off
	s_waitcnt lgkmcnt(1)
	global_store_dword v[12:13], v10, off
	global_store_dword v[14:15], v11, off
	v_lshlrev_b64 v[1:2], 2, v[4:5]
	v_add_co_u32 v6, vcc_lo, v21, v18
	v_add_co_ci_u32_e32 v7, vcc_lo, v22, v19, vcc_lo
	v_add_nc_u32_e32 v4, 0x6f6, v0
	v_add_co_u32 v1, vcc_lo, v21, v1
	v_add_co_ci_u32_e32 v2, vcc_lo, v22, v2, vcc_lo
	v_add_nc_u32_e32 v3, 0x1a00, v20
	v_add_nc_u32_e32 v10, 0x1c00, v20
	v_lshlrev_b64 v[8:9], 2, v[4:5]
	v_add_nc_u32_e32 v4, 0x747, v0
	s_waitcnt lgkmcnt(0)
	global_store_dword v[6:7], v16, off
	global_store_dword v[1:2], v17, off
	ds_read2_b32 v[1:2], v3 offset0:118 offset1:199
	ds_read2_b32 v[10:11], v10 offset0:152 offset1:233
	v_add_nc_u32_e32 v3, 0x2000, v20
	v_lshlrev_b64 v[6:7], 2, v[4:5]
	v_add_nc_u32_e32 v4, 0x798, v0
	v_add_co_u32 v8, vcc_lo, v21, v8
	v_add_co_ci_u32_e32 v9, vcc_lo, v22, v9, vcc_lo
	v_lshlrev_b64 v[12:13], 2, v[4:5]
	v_add_nc_u32_e32 v4, 0x7e9, v0
	v_add_co_u32 v6, vcc_lo, v21, v6
	v_add_co_ci_u32_e32 v7, vcc_lo, v22, v7, vcc_lo
	v_add_co_u32 v12, vcc_lo, v21, v12
	v_lshlrev_b64 v[14:15], 2, v[4:5]
	v_add_nc_u32_e32 v4, 0x83a, v0
	v_add_co_ci_u32_e32 v13, vcc_lo, v22, v13, vcc_lo
	s_waitcnt lgkmcnt(1)
	global_store_dword v[8:9], v1, off
	global_store_dword v[6:7], v2, off
	s_waitcnt lgkmcnt(0)
	global_store_dword v[12:13], v10, off
	v_lshlrev_b64 v[1:2], 2, v[4:5]
	v_add_nc_u32_e32 v4, 0x88b, v0
	v_add_nc_u32_e32 v10, 0x2200, v20
	v_add_co_u32 v6, vcc_lo, v21, v14
	ds_read2_b32 v[8:9], v3 offset0:58 offset1:139
	v_lshlrev_b64 v[12:13], 2, v[4:5]
	v_add_nc_u32_e32 v4, 0x8dc, v0
	v_add_co_ci_u32_e32 v7, vcc_lo, v22, v15, vcc_lo
	ds_read2_b32 v[14:15], v10 offset0:92 offset1:173
	v_add_co_u32 v1, vcc_lo, v21, v1
	v_lshlrev_b64 v[16:17], 2, v[4:5]
	v_add_nc_u32_e32 v4, 0x92d, v0
	v_add_co_ci_u32_e32 v2, vcc_lo, v22, v2, vcc_lo
	v_add_co_u32 v12, vcc_lo, v21, v12
	v_lshlrev_b64 v[3:4], 2, v[4:5]
	v_add_co_ci_u32_e32 v13, vcc_lo, v22, v13, vcc_lo
	v_add_co_u32 v16, vcc_lo, v21, v16
	v_add_co_ci_u32_e32 v17, vcc_lo, v22, v17, vcc_lo
	v_add_co_u32 v3, vcc_lo, v21, v3
	v_add_co_ci_u32_e32 v4, vcc_lo, v22, v4, vcc_lo
	global_store_dword v[6:7], v11, off
	s_waitcnt lgkmcnt(1)
	global_store_dword v[1:2], v8, off
	global_store_dword v[12:13], v9, off
	s_waitcnt lgkmcnt(0)
	global_store_dword v[16:17], v14, off
	global_store_dword v[3:4], v15, off
.LBB0_19:
	s_endpgm
	.section	.rodata,"a",@progbits
	.p2align	6, 0x0
	.amdhsa_kernel fft_rtc_fwd_len2430_factors_10_3_3_3_3_3_wgs_81_tpt_81_halfLds_half_ip_CI_unitstride_sbrr_C2R_dirReg
		.amdhsa_group_segment_fixed_size 0
		.amdhsa_private_segment_fixed_size 0
		.amdhsa_kernarg_size 88
		.amdhsa_user_sgpr_count 6
		.amdhsa_user_sgpr_private_segment_buffer 1
		.amdhsa_user_sgpr_dispatch_ptr 0
		.amdhsa_user_sgpr_queue_ptr 0
		.amdhsa_user_sgpr_kernarg_segment_ptr 1
		.amdhsa_user_sgpr_dispatch_id 0
		.amdhsa_user_sgpr_flat_scratch_init 0
		.amdhsa_user_sgpr_private_segment_size 0
		.amdhsa_wavefront_size32 1
		.amdhsa_uses_dynamic_stack 0
		.amdhsa_system_sgpr_private_segment_wavefront_offset 0
		.amdhsa_system_sgpr_workgroup_id_x 1
		.amdhsa_system_sgpr_workgroup_id_y 0
		.amdhsa_system_sgpr_workgroup_id_z 0
		.amdhsa_system_sgpr_workgroup_info 0
		.amdhsa_system_vgpr_workitem_id 0
		.amdhsa_next_free_vgpr 143
		.amdhsa_next_free_sgpr 21
		.amdhsa_reserve_vcc 1
		.amdhsa_reserve_flat_scratch 0
		.amdhsa_float_round_mode_32 0
		.amdhsa_float_round_mode_16_64 0
		.amdhsa_float_denorm_mode_32 3
		.amdhsa_float_denorm_mode_16_64 3
		.amdhsa_dx10_clamp 1
		.amdhsa_ieee_mode 1
		.amdhsa_fp16_overflow 0
		.amdhsa_workgroup_processor_mode 1
		.amdhsa_memory_ordered 1
		.amdhsa_forward_progress 0
		.amdhsa_shared_vgpr_count 0
		.amdhsa_exception_fp_ieee_invalid_op 0
		.amdhsa_exception_fp_denorm_src 0
		.amdhsa_exception_fp_ieee_div_zero 0
		.amdhsa_exception_fp_ieee_overflow 0
		.amdhsa_exception_fp_ieee_underflow 0
		.amdhsa_exception_fp_ieee_inexact 0
		.amdhsa_exception_int_div_zero 0
	.end_amdhsa_kernel
	.text
.Lfunc_end0:
	.size	fft_rtc_fwd_len2430_factors_10_3_3_3_3_3_wgs_81_tpt_81_halfLds_half_ip_CI_unitstride_sbrr_C2R_dirReg, .Lfunc_end0-fft_rtc_fwd_len2430_factors_10_3_3_3_3_3_wgs_81_tpt_81_halfLds_half_ip_CI_unitstride_sbrr_C2R_dirReg
                                        ; -- End function
	.section	.AMDGPU.csdata,"",@progbits
; Kernel info:
; codeLenInByte = 22516
; NumSgprs: 23
; NumVgprs: 143
; ScratchSize: 0
; MemoryBound: 0
; FloatMode: 240
; IeeeMode: 1
; LDSByteSize: 0 bytes/workgroup (compile time only)
; SGPRBlocks: 2
; VGPRBlocks: 17
; NumSGPRsForWavesPerEU: 23
; NumVGPRsForWavesPerEU: 143
; Occupancy: 7
; WaveLimiterHint : 1
; COMPUTE_PGM_RSRC2:SCRATCH_EN: 0
; COMPUTE_PGM_RSRC2:USER_SGPR: 6
; COMPUTE_PGM_RSRC2:TRAP_HANDLER: 0
; COMPUTE_PGM_RSRC2:TGID_X_EN: 1
; COMPUTE_PGM_RSRC2:TGID_Y_EN: 0
; COMPUTE_PGM_RSRC2:TGID_Z_EN: 0
; COMPUTE_PGM_RSRC2:TIDIG_COMP_CNT: 0
	.text
	.p2alignl 6, 3214868480
	.fill 48, 4, 3214868480
	.type	__hip_cuid_e4c30797c98d84e7,@object ; @__hip_cuid_e4c30797c98d84e7
	.section	.bss,"aw",@nobits
	.globl	__hip_cuid_e4c30797c98d84e7
__hip_cuid_e4c30797c98d84e7:
	.byte	0                               ; 0x0
	.size	__hip_cuid_e4c30797c98d84e7, 1

	.ident	"AMD clang version 19.0.0git (https://github.com/RadeonOpenCompute/llvm-project roc-6.4.0 25133 c7fe45cf4b819c5991fe208aaa96edf142730f1d)"
	.section	".note.GNU-stack","",@progbits
	.addrsig
	.addrsig_sym __hip_cuid_e4c30797c98d84e7
	.amdgpu_metadata
---
amdhsa.kernels:
  - .args:
      - .actual_access:  read_only
        .address_space:  global
        .offset:         0
        .size:           8
        .value_kind:     global_buffer
      - .offset:         8
        .size:           8
        .value_kind:     by_value
      - .actual_access:  read_only
        .address_space:  global
        .offset:         16
        .size:           8
        .value_kind:     global_buffer
      - .actual_access:  read_only
        .address_space:  global
        .offset:         24
        .size:           8
        .value_kind:     global_buffer
      - .offset:         32
        .size:           8
        .value_kind:     by_value
      - .actual_access:  read_only
        .address_space:  global
        .offset:         40
        .size:           8
        .value_kind:     global_buffer
      - .actual_access:  read_only
        .address_space:  global
        .offset:         48
        .size:           8
        .value_kind:     global_buffer
      - .offset:         56
        .size:           4
        .value_kind:     by_value
      - .actual_access:  read_only
        .address_space:  global
        .offset:         64
        .size:           8
        .value_kind:     global_buffer
      - .actual_access:  read_only
        .address_space:  global
        .offset:         72
        .size:           8
        .value_kind:     global_buffer
      - .address_space:  global
        .offset:         80
        .size:           8
        .value_kind:     global_buffer
    .group_segment_fixed_size: 0
    .kernarg_segment_align: 8
    .kernarg_segment_size: 88
    .language:       OpenCL C
    .language_version:
      - 2
      - 0
    .max_flat_workgroup_size: 81
    .name:           fft_rtc_fwd_len2430_factors_10_3_3_3_3_3_wgs_81_tpt_81_halfLds_half_ip_CI_unitstride_sbrr_C2R_dirReg
    .private_segment_fixed_size: 0
    .sgpr_count:     23
    .sgpr_spill_count: 0
    .symbol:         fft_rtc_fwd_len2430_factors_10_3_3_3_3_3_wgs_81_tpt_81_halfLds_half_ip_CI_unitstride_sbrr_C2R_dirReg.kd
    .uniform_work_group_size: 1
    .uses_dynamic_stack: false
    .vgpr_count:     143
    .vgpr_spill_count: 0
    .wavefront_size: 32
    .workgroup_processor_mode: 1
amdhsa.target:   amdgcn-amd-amdhsa--gfx1030
amdhsa.version:
  - 1
  - 2
...

	.end_amdgpu_metadata
